;; amdgpu-corpus repo=ROCm/rocFFT kind=compiled arch=gfx950 opt=O3
	.text
	.amdgcn_target "amdgcn-amd-amdhsa--gfx950"
	.amdhsa_code_object_version 6
	.protected	bluestein_single_fwd_len306_dim1_sp_op_CI_CI ; -- Begin function bluestein_single_fwd_len306_dim1_sp_op_CI_CI
	.globl	bluestein_single_fwd_len306_dim1_sp_op_CI_CI
	.p2align	8
	.type	bluestein_single_fwd_len306_dim1_sp_op_CI_CI,@function
bluestein_single_fwd_len306_dim1_sp_op_CI_CI: ; @bluestein_single_fwd_len306_dim1_sp_op_CI_CI
; %bb.0:
	s_load_dwordx4 s[8:11], s[0:1], 0x28
	v_mul_u32_u24_e32 v1, 0x788, v0
	v_lshrrev_b32_e32 v2, 16, v1
	v_mad_u64_u32 v[42:43], s[2:3], s2, 7, v[2:3]
	v_mov_b32_e32 v75, 0
	v_mov_b32_e32 v43, v75
	s_waitcnt lgkmcnt(0)
	v_cmp_gt_u64_e32 vcc, s[8:9], v[42:43]
	s_and_saveexec_b64 s[2:3], vcc
	s_cbranch_execz .LBB0_23
; %bb.1:
	v_mul_lo_u16_e32 v1, 34, v2
	s_mov_b32 s2, 0x24924925
	v_sub_u16_e32 v74, v0, v1
	v_mul_hi_u32 v0, v42, s2
	v_sub_u32_e32 v1, v42, v0
	v_lshrrev_b32_e32 v1, 1, v1
	v_add_u32_e32 v0, v1, v0
	v_lshrrev_b32_e32 v0, 2, v0
	s_load_dwordx2 s[8:9], s[0:1], 0x0
	s_load_dwordx2 s[12:13], s[0:1], 0x38
	v_mul_lo_u32 v0, v0, 7
	v_sub_u32_e32 v0, v42, v0
	v_mul_u32_u24_e32 v0, 0x132, v0
	v_accvgpr_write_b32 a3, v0
	v_lshlrev_b32_e32 v0, 3, v0
	v_cmp_gt_u16_e32 vcc, 18, v74
	v_lshlrev_b32_e32 v43, 3, v74
	v_accvgpr_write_b32 a2, v0
	s_and_saveexec_b64 s[2:3], vcc
	s_cbranch_execz .LBB0_3
; %bb.2:
	s_load_dwordx2 s[4:5], s[0:1], 0x18
	v_mov_b32_e32 v0, s10
	v_mov_b32_e32 v1, s11
	;; [unrolled: 1-line block ×3, first 2 shown]
	s_waitcnt lgkmcnt(0)
	s_load_dwordx4 s[4:7], s[4:5], 0x0
	s_waitcnt lgkmcnt(0)
	v_mad_u64_u32 v[2:3], s[10:11], s6, v42, 0
	v_mad_u64_u32 v[4:5], s[10:11], s4, v74, 0
	v_mov_b32_e32 v6, v3
	v_mov_b32_e32 v8, v5
	v_mad_u64_u32 v[6:7], s[6:7], s7, v42, v[6:7]
	v_mov_b32_e32 v3, v6
	v_mad_u64_u32 v[6:7], s[6:7], s5, v74, v[8:9]
	v_mov_b32_e32 v5, v6
	v_lshl_add_u64 v[2:3], v[2:3], 3, v[0:1]
	v_lshl_add_u64 v[4:5], v[4:5], 3, v[2:3]
	v_mad_u64_u32 v[22:23], s[6:7], s4, v70, v[4:5]
	s_mul_i32 s6, s5, 0x90
	s_nop 0
	v_add_u32_e32 v23, s6, v23
	v_mad_u64_u32 v[24:25], s[10:11], s4, v70, v[22:23]
	v_add_u32_e32 v25, s6, v25
	v_mad_u64_u32 v[26:27], s[10:11], s4, v70, v[24:25]
	;; [unrolled: 2-line block ×3, first 2 shown]
	v_add_u32_e32 v29, s6, v29
	global_load_dwordx2 v[0:1], v[4:5], off
	global_load_dwordx2 v[10:11], v43, s[8:9]
	global_load_dwordx2 v[8:9], v43, s[8:9] offset:144
	global_load_dwordx2 v[6:7], v43, s[8:9] offset:288
	s_nop 0
	global_load_dwordx2 v[4:5], v43, s[8:9] offset:432
	global_load_dwordx2 v[20:21], v[22:23], off
	global_load_dwordx2 v[18:19], v[24:25], off
	;; [unrolled: 1-line block ×4, first 2 shown]
	global_load_dwordx2 v[16:17], v43, s[8:9] offset:576
	global_load_dwordx2 v[30:31], v43, s[8:9] offset:720
	;; [unrolled: 1-line block ×4, first 2 shown]
	v_mad_u64_u32 v[26:27], s[10:11], s4, v70, v[28:29]
	v_add_u32_e32 v27, s6, v27
	global_load_dwordx2 v[28:29], v[26:27], off
	v_mad_u64_u32 v[26:27], s[10:11], s4, v70, v[26:27]
	v_add_u32_e32 v27, s6, v27
	global_load_dwordx2 v[36:37], v[26:27], off
	;; [unrolled: 3-line block ×4, first 2 shown]
	v_mad_u64_u32 v[26:27], s[10:11], s4, v70, v[26:27]
	v_add_u32_e32 v27, s6, v27
	global_load_dwordx2 v[44:45], v43, s[8:9] offset:1152
	global_load_dwordx2 v[46:47], v[26:27], off
	v_mad_u64_u32 v[26:27], s[10:11], s4, v70, v[26:27]
	v_add_u32_e32 v27, s6, v27
	global_load_dwordx2 v[48:49], v43, s[8:9] offset:1296
	global_load_dwordx2 v[50:51], v[26:27], off
	;; [unrolled: 4-line block ×3, first 2 shown]
	global_load_dwordx2 v[56:57], v43, s[8:9] offset:1584
	v_mad_u64_u32 v[26:27], s[10:11], s4, v70, v[26:27]
	v_add_u32_e32 v27, s6, v27
	v_or_b32_e32 v25, 0x120, v74
	global_load_dwordx2 v[58:59], v[26:27], off
	global_load_dwordx2 v[60:61], v43, s[8:9] offset:1728
	v_mad_u64_u32 v[26:27], s[10:11], s4, v70, v[26:27]
	v_mad_u64_u32 v[22:23], s[10:11], s4, v25, 0
	v_add_u32_e32 v27, s6, v27
	v_mov_b32_e32 v24, v23
	global_load_dwordx2 v[62:63], v[26:27], off
	global_load_dwordx2 v[64:65], v43, s[8:9] offset:1872
	v_mad_u64_u32 v[26:27], s[10:11], s4, v70, v[26:27]
	v_mad_u64_u32 v[24:25], s[10:11], s5, v25, v[24:25]
	v_add_u32_e32 v27, s6, v27
	global_load_dwordx2 v[66:67], v[26:27], off
	global_load_dwordx2 v[68:69], v43, s[8:9] offset:2016
	v_mad_u64_u32 v[26:27], s[4:5], s4, v70, v[26:27]
	v_mov_b32_e32 v23, v24
	v_add_u32_e32 v27, s6, v27
	v_lshl_add_u64 v[2:3], v[22:23], 3, v[2:3]
	global_load_dwordx2 v[70:71], v[26:27], off
	global_load_dwordx2 v[72:73], v43, s[8:9] offset:2160
	global_load_dwordx2 v[22:23], v[2:3], off
	global_load_dwordx2 v[24:25], v43, s[8:9] offset:2304
	v_accvgpr_read_b32 v2, a2
	v_lshl_add_u32 v26, v74, 3, v2
	v_add_u32_e32 v27, v2, v43
	s_waitcnt vmcnt(32)
	v_mul_f32_e32 v2, v1, v11
	v_mul_f32_e32 v3, v0, v11
	v_fmac_f32_e32 v2, v0, v10
	v_fma_f32 v3, v1, v10, -v3
	ds_write_b64 v26, v[2:3]
	s_waitcnt vmcnt(28)
	v_mul_f32_e32 v0, v21, v9
	v_mul_f32_e32 v1, v20, v9
	s_waitcnt vmcnt(27)
	v_mul_f32_e32 v2, v19, v7
	v_mul_f32_e32 v3, v18, v7
	v_fmac_f32_e32 v0, v20, v8
	v_fma_f32 v1, v21, v8, -v1
	v_fmac_f32_e32 v2, v18, v6
	v_fma_f32 v3, v19, v6, -v3
	ds_write2_b64 v27, v[0:1], v[2:3] offset0:18 offset1:36
	s_waitcnt vmcnt(26)
	v_mul_f32_e32 v0, v15, v5
	v_mul_f32_e32 v1, v14, v5
	s_waitcnt vmcnt(24)
	v_mul_f32_e32 v2, v13, v17
	v_mul_f32_e32 v3, v12, v17
	v_fmac_f32_e32 v0, v14, v4
	v_fma_f32 v1, v15, v4, -v1
	v_fmac_f32_e32 v2, v12, v16
	v_fma_f32 v3, v13, v16, -v3
	ds_write2_b64 v27, v[0:1], v[2:3] offset0:54 offset1:72
	;; [unrolled: 11-line block ×7, first 2 shown]
	s_waitcnt vmcnt(2)
	v_mul_f32_e32 v0, v71, v73
	v_mul_f32_e32 v1, v70, v73
	s_waitcnt vmcnt(0)
	v_mul_f32_e32 v2, v23, v25
	v_mul_f32_e32 v3, v22, v25
	v_fmac_f32_e32 v0, v70, v72
	v_fma_f32 v1, v71, v72, -v1
	v_fmac_f32_e32 v2, v22, v24
	v_fma_f32 v3, v23, v24, -v3
	v_add_u32_e32 v4, 0x800, v27
	ds_write2_b64 v4, v[0:1], v[2:3] offset0:14 offset1:32
.LBB0_3:
	s_or_b64 exec, exec, s[2:3]
	v_accvgpr_write_b32 a0, v74
	v_accvgpr_write_b32 a1, v75
	v_mov_b32_e32 v0, 0
	v_mov_b32_e32 v1, 0
	s_waitcnt lgkmcnt(0)
	s_barrier
	s_waitcnt lgkmcnt(0)
                                        ; implicit-def: $vgpr70
                                        ; implicit-def: $vgpr12
                                        ; implicit-def: $vgpr10
                                        ; implicit-def: $vgpr24
                                        ; implicit-def: $vgpr22
                                        ; implicit-def: $vgpr34
                                        ; implicit-def: $vgpr28
                                        ; implicit-def: $vgpr4
	s_and_saveexec_b64 s[2:3], vcc
	s_cbranch_execz .LBB0_5
; %bb.4:
	v_accvgpr_read_b32 v0, a3
	v_lshl_add_u32 v4, v0, 3, v43
	ds_read2_b64 v[0:3], v4 offset1:18
	ds_read2_b64 v[28:31], v4 offset0:36 offset1:54
	ds_read2_b64 v[20:23], v4 offset0:72 offset1:90
	;; [unrolled: 1-line block ×6, first 2 shown]
	v_add_u32_e32 v5, 0x400, v4
	ds_read2_b64 v[32:35], v5 offset0:124 offset1:142
	ds_read_b64 v[4:5], v4 offset:2304
.LBB0_5:
	s_or_b64 exec, exec, s[2:3]
	s_waitcnt lgkmcnt(0)
	v_accvgpr_write_b32 a13, v5
	v_pk_add_f32 v[46:47], v[2:3], v[4:5] neg_lo:[0,1] neg_hi:[0,1]
	s_mov_b32 s6, 0xbe3c28d5
	v_pk_add_f32 v[18:19], v[4:5], v[2:3]
	v_accvgpr_write_b32 a12, v4
	v_pk_add_f32 v[50:51], v[28:29], v[34:35] neg_lo:[0,1] neg_hi:[0,1]
	s_mov_b32 s4, 0xbf7ba420
	s_mov_b32 s14, 0x3eb8f4ab
	v_pk_mul_f32 v[4:5], v[46:47], s[6:7] op_sel_hi:[1,0]
	s_mov_b32 s2, 0x3f6eb680
	v_pk_add_f32 v[100:101], v[34:35], v[28:29]
	v_pk_fma_f32 v[6:7], v[18:19], s[4:5], v[4:5] op_sel:[0,0,1] op_sel_hi:[1,0,0]
	v_pk_fma_f32 v[4:5], v[18:19], s[4:5], v[4:5] op_sel:[0,0,1] op_sel_hi:[1,0,0] neg_lo:[0,0,1] neg_hi:[0,0,1]
	v_pk_mul_f32 v[36:37], v[50:51], s[14:15] op_sel_hi:[1,0]
	v_mov_b32_e32 v16, v6
	v_mov_b32_e32 v17, v5
	v_pk_fma_f32 v[38:39], v[100:101], s[2:3], v[36:37] op_sel:[0,0,1] op_sel_hi:[1,0,0]
	v_pk_fma_f32 v[36:37], v[100:101], s[2:3], v[36:37] op_sel:[0,0,1] op_sel_hi:[1,0,0] neg_lo:[0,0,1] neg_hi:[0,0,1]
	v_pk_add_f32 v[62:63], v[30:31], v[32:33] neg_lo:[0,1] neg_hi:[0,1]
	s_mov_b32 s16, 0xbf06c442
	v_mov_b32_e32 v40, v38
	v_mov_b32_e32 v41, v37
	v_pk_add_f32 v[16:17], v[16:17], v[0:1]
	v_pk_add_f32 v[52:53], v[32:33], v[30:31]
	s_mov_b32 s10, 0xbf59a7d5
	v_pk_add_f32 v[16:17], v[40:41], v[16:17]
	v_pk_mul_f32 v[40:41], v[62:63], s[16:17] op_sel_hi:[1,0]
	s_mov_b32 s26, 0x3f2c7751
	v_pk_fma_f32 v[44:45], v[52:53], s[10:11], v[40:41] op_sel:[0,0,1] op_sel_hi:[1,0,0]
	v_pk_fma_f32 v[40:41], v[52:53], s[10:11], v[40:41] op_sel:[0,0,1] op_sel_hi:[1,0,0] neg_lo:[0,0,1] neg_hi:[0,0,1]
	v_mov_b32_e32 v48, v44
	v_mov_b32_e32 v49, v41
	v_pk_add_f32 v[116:117], v[20:21], v[26:27] neg_lo:[0,1] neg_hi:[0,1]
	v_pk_add_f32 v[16:17], v[48:49], v[16:17]
	s_mov_b32 s22, 0x3f3d2fb0
	v_pk_add_f32 v[112:113], v[26:27], v[20:21]
	v_pk_mul_f32 v[48:49], v[116:117], s[26:27] op_sel:[1,0] op_sel_hi:[0,0]
	v_pk_fma_f32 v[54:55], v[112:113], s[22:23], v[48:49] op_sel_hi:[1,0,1]
	v_pk_fma_f32 v[48:49], v[112:113], s[22:23], v[48:49] op_sel_hi:[1,0,1] neg_lo:[0,0,1] neg_hi:[0,0,1]
	v_mov_b32_e32 v56, v54
	v_mov_b32_e32 v57, v49
	s_mov_b32 s36, 0xbf4c4adb
	v_pk_add_f32 v[126:127], v[22:23], v[24:25] neg_lo:[0,1] neg_hi:[0,1]
	v_pk_add_f32 v[16:17], v[56:57], v[16:17]
	s_mov_b32 s20, 0xbf1a4643
	v_pk_add_f32 v[120:121], v[24:25], v[22:23]
	v_pk_mul_f32 v[56:57], v[126:127], s[36:37] op_sel:[1,0] op_sel_hi:[0,0]
	v_mov_b32_e32 v5, v7
	v_pk_fma_f32 v[58:59], v[120:121], s[20:21], v[56:57] op_sel_hi:[1,0,1]
	v_pk_fma_f32 v[56:57], v[120:121], s[20:21], v[56:57] op_sel_hi:[1,0,1] neg_lo:[0,0,1] neg_hi:[0,0,1]
	v_mov_b32_e32 v37, v39
	v_pk_add_f32 v[4:5], v[4:5], v[0:1]
	v_mov_b32_e32 v60, v58
	v_mov_b32_e32 v61, v57
	s_mov_b32 s30, 0x3f65296c
	v_pk_add_f32 v[136:137], v[8:9], v[14:15] neg_lo:[0,1] neg_hi:[0,1]
	v_mov_b32_e32 v41, v45
	v_pk_add_f32 v[4:5], v[36:37], v[4:5]
	v_pk_add_f32 v[16:17], v[60:61], v[16:17]
	s_mov_b32 s28, 0x3ee437d1
	v_pk_add_f32 v[134:135], v[14:15], v[8:9]
	v_pk_mul_f32 v[60:61], v[136:137], s[30:31] op_sel:[1,0] op_sel_hi:[0,0]
	v_mov_b32_e32 v49, v55
	s_mov_b32 s24, 0xbf763a35
	v_pk_add_f32 v[196:197], v[10:11], v[12:13] neg_lo:[0,1] neg_hi:[0,1]
	v_pk_add_f32 v[4:5], v[40:41], v[4:5]
	v_pk_fma_f32 v[64:65], v[134:135], s[28:29], v[60:61] op_sel_hi:[1,0,1]
	v_pk_fma_f32 v[60:61], v[134:135], s[28:29], v[60:61] op_sel_hi:[1,0,1] neg_lo:[0,0,1] neg_hi:[0,0,1]
	v_mov_b32_e32 v57, v59
	s_mov_b32 s18, 0xbe8c1d8e
	v_pk_add_f32 v[188:189], v[12:13], v[10:11]
	v_pk_mul_f32 v[6:7], v[196:197], s[24:25] op_sel:[1,0] op_sel_hi:[0,0]
	v_pk_add_f32 v[4:5], v[48:49], v[4:5]
	v_mov_b32_e32 v66, v64
	v_mov_b32_e32 v67, v61
	v_mov_b32_e32 v61, v65
	v_pk_fma_f32 v[38:39], v[188:189], s[18:19], v[6:7] op_sel_hi:[1,0,1]
	v_pk_fma_f32 v[6:7], v[188:189], s[18:19], v[6:7] op_sel_hi:[1,0,1] neg_lo:[0,0,1] neg_hi:[0,0,1]
	v_pk_add_f32 v[4:5], v[56:57], v[4:5]
	v_pk_add_f32 v[16:17], v[66:67], v[16:17]
	v_mov_b32_e32 v44, v38
	v_mov_b32_e32 v45, v7
	;; [unrolled: 1-line block ×3, first 2 shown]
	v_pk_add_f32 v[4:5], v[60:61], v[4:5]
	s_mov_b32 s34, 0x3dbcf732
	v_pk_add_f32 v[146:147], v[70:71], v[68:69]
	v_pk_add_f32 v[4:5], v[6:7], v[4:5]
	;; [unrolled: 1-line block ×3, first 2 shown]
	s_mov_b32 s42, 0x3f7ee86f
	v_pk_add_f32 v[154:155], v[68:69], v[70:71] neg_lo:[0,1] neg_hi:[0,1]
	v_pk_mul_f32 v[16:17], v[146:147], s[34:35] op_sel_hi:[1,0]
	s_mov_b32 s38, 0xbeb8f4ab
	v_pk_fma_f32 v[36:37], v[154:155], s[42:43], v[16:17] op_sel:[1,0,0] op_sel_hi:[0,0,1] neg_lo:[1,0,0] neg_hi:[1,0,0]
	v_pk_fma_f32 v[16:17], v[154:155], s[42:43], v[16:17] op_sel:[1,0,0] op_sel_hi:[0,0,1]
	v_mov_b32_e32 v38, v36
	v_mov_b32_e32 v39, v17
	;; [unrolled: 1-line block ×3, first 2 shown]
	v_pk_add_f32 v[36:37], v[38:39], v[4:5]
	v_pk_mul_f32 v[4:5], v[46:47], s[38:39] op_sel_hi:[1,0]
	v_pk_add_f32 v[38:39], v[16:17], v[6:7]
	v_pk_fma_f32 v[6:7], v[18:19], s[2:3], v[4:5] op_sel:[0,0,1] op_sel_hi:[1,0,0]
	s_mov_b32 s44, 0xbf2c7751
	v_pk_fma_f32 v[78:79], v[18:19], s[2:3], v[4:5] op_sel:[0,0,1] op_sel_hi:[1,0,0] neg_lo:[0,0,1] neg_hi:[0,0,1]
	v_accvgpr_write_b32 a17, v7
	v_mov_b32_e32 v4, v6
	v_pk_mul_f32 v[6:7], v[50:51], s[44:45] op_sel_hi:[1,0]
	v_mov_b32_e32 v5, v79
	v_pk_fma_f32 v[16:17], v[100:101], s[22:23], v[6:7] op_sel:[0,0,1] op_sel_hi:[1,0,0]
	v_pk_fma_f32 v[82:83], v[100:101], s[22:23], v[6:7] op_sel:[0,0,1] op_sel_hi:[1,0,0] neg_lo:[0,0,1] neg_hi:[0,0,1]
	v_pk_add_f32 v[4:5], v[4:5], v[0:1]
	v_mov_b32_e32 v6, v16
	v_mov_b32_e32 v7, v83
	v_pk_add_f32 v[4:5], v[6:7], v[4:5]
	v_pk_mul_f32 v[6:7], v[46:47], s[44:45] op_sel_hi:[1,0]
	s_mov_b32 s40, 0xbf7ee86f
	v_accvgpr_write_b32 a15, v17
	v_pk_fma_f32 v[16:17], v[18:19], s[22:23], v[6:7] op_sel:[0,0,1] op_sel_hi:[1,0,0]
	v_pk_fma_f32 v[72:73], v[18:19], s[22:23], v[6:7] op_sel:[0,0,1] op_sel_hi:[1,0,0] neg_lo:[0,0,1] neg_hi:[0,0,1]
	v_pk_mul_f32 v[6:7], v[50:51], s[40:41] op_sel_hi:[1,0]
	v_mov_b32_e32 v79, v17
	v_pk_fma_f32 v[40:41], v[100:101], s[34:35], v[6:7] op_sel:[0,0,1] op_sel_hi:[1,0,0]
	v_pk_fma_f32 v[74:75], v[100:101], s[34:35], v[6:7] op_sel:[0,0,1] op_sel_hi:[1,0,0] neg_lo:[0,0,1] neg_hi:[0,0,1]
	v_mov_b32_e32 v6, v16
	v_mov_b32_e32 v7, v73
	v_pk_add_f32 v[6:7], v[6:7], v[0:1]
	v_mov_b32_e32 v16, v40
	v_mov_b32_e32 v17, v75
	v_accvgpr_write_b32 a8, v68
	v_pk_add_f32 v[6:7], v[16:17], v[6:7]
	s_mov_b32 s46, 0xbf65296c
	v_pk_mul_f32 v[16:17], v[50:51], s[36:37] op_sel_hi:[1,0]
	v_accvgpr_write_b32 a9, v69
	v_accvgpr_write_b32 a10, v70
	;; [unrolled: 1-line block ×3, first 2 shown]
	v_pk_fma_f32 v[118:119], v[100:101], s[20:21], v[16:17] op_sel:[0,0,1] op_sel_hi:[1,0,0]
	v_pk_fma_f32 v[68:69], v[100:101], s[20:21], v[16:17] op_sel:[0,0,1] op_sel_hi:[1,0,0] neg_lo:[0,0,1] neg_hi:[0,0,1]
	v_pk_mul_f32 v[16:17], v[46:47], s[46:47] op_sel_hi:[1,0]
	v_mov_b32_e32 v83, v41
	v_pk_fma_f32 v[128:129], v[18:19], s[28:29], v[16:17] op_sel:[0,0,1] op_sel_hi:[1,0,0]
	v_pk_fma_f32 v[70:71], v[18:19], s[28:29], v[16:17] op_sel:[0,0,1] op_sel_hi:[1,0,0] neg_lo:[0,0,1] neg_hi:[0,0,1]
	v_mov_b32_e32 v16, v128
	v_mov_b32_e32 v17, v71
	v_pk_add_f32 v[16:17], v[16:17], v[0:1]
	v_mov_b32_e32 v40, v118
	v_mov_b32_e32 v41, v69
	v_pk_add_f32 v[16:17], v[40:41], v[16:17]
	v_pk_mul_f32 v[40:41], v[46:47], s[40:41] op_sel_hi:[1,0]
	v_pk_mul_f32 v[44:45], v[50:51], s[6:7] op_sel_hi:[1,0]
	v_pk_fma_f32 v[148:149], v[18:19], s[34:35], v[40:41] op_sel:[0,0,1] op_sel_hi:[1,0,0]
	v_pk_fma_f32 v[64:65], v[18:19], s[34:35], v[40:41] op_sel:[0,0,1] op_sel_hi:[1,0,0] neg_lo:[0,0,1] neg_hi:[0,0,1]
	v_mov_b32_e32 v40, v148
	v_mov_b32_e32 v41, v65
	v_pk_fma_f32 v[156:157], v[100:101], s[4:5], v[44:45] op_sel:[0,0,1] op_sel_hi:[1,0,0]
	v_pk_fma_f32 v[66:67], v[100:101], s[4:5], v[44:45] op_sel:[0,0,1] op_sel_hi:[1,0,0] neg_lo:[0,0,1] neg_hi:[0,0,1]
	v_mov_b32_e32 v44, v156
	v_mov_b32_e32 v45, v67
	v_pk_add_f32 v[40:41], v[40:41], v[0:1]
	s_mov_b32 s48, 0x3e3c28d5
	v_pk_add_f32 v[40:41], v[44:45], v[40:41]
	v_pk_mul_f32 v[44:45], v[62:63], s[46:47] op_sel_hi:[1,0]
	s_mov_b32 s52, 0x3f06c442
	v_pk_fma_f32 v[48:49], v[52:53], s[28:29], v[44:45] op_sel:[0,0,1] op_sel_hi:[1,0,0]
	v_pk_fma_f32 v[108:109], v[52:53], s[28:29], v[44:45] op_sel:[0,0,1] op_sel_hi:[1,0,0] neg_lo:[0,0,1] neg_hi:[0,0,1]
	v_mov_b32_e32 v44, v48
	v_mov_b32_e32 v45, v109
	v_pk_add_f32 v[4:5], v[44:45], v[4:5]
	v_pk_mul_f32 v[44:45], v[62:63], s[36:37] op_sel_hi:[1,0]
	v_accvgpr_write_b32 a25, v49
	v_pk_fma_f32 v[48:49], v[52:53], s[20:21], v[44:45] op_sel:[0,0,1] op_sel_hi:[1,0,0]
	v_pk_fma_f32 v[92:93], v[52:53], s[20:21], v[44:45] op_sel:[0,0,1] op_sel_hi:[1,0,0] neg_lo:[0,0,1] neg_hi:[0,0,1]
	v_mov_b32_e32 v44, v48
	v_mov_b32_e32 v45, v93
	v_pk_add_f32 v[6:7], v[44:45], v[6:7]
	v_pk_mul_f32 v[44:45], v[62:63], s[48:49] op_sel_hi:[1,0]
	s_mov_b32 s48, 0x3f763a35
	v_pk_fma_f32 v[162:163], v[52:53], s[4:5], v[44:45] op_sel:[0,0,1] op_sel_hi:[1,0,0]
	v_pk_fma_f32 v[84:85], v[52:53], s[4:5], v[44:45] op_sel:[0,0,1] op_sel_hi:[1,0,0] neg_lo:[0,0,1] neg_hi:[0,0,1]
	v_mov_b32_e32 v44, v162
	v_mov_b32_e32 v45, v85
	v_pk_add_f32 v[16:17], v[44:45], v[16:17]
	v_pk_mul_f32 v[44:45], v[62:63], s[48:49] op_sel_hi:[1,0]
	v_accvgpr_write_b32 a19, v49
	v_pk_fma_f32 v[194:195], v[52:53], s[18:19], v[44:45] op_sel:[0,0,1] op_sel_hi:[1,0,0]
	v_pk_fma_f32 v[76:77], v[52:53], s[18:19], v[44:45] op_sel:[0,0,1] op_sel_hi:[1,0,0] neg_lo:[0,0,1] neg_hi:[0,0,1]
	v_mov_b32_e32 v44, v194
	v_mov_b32_e32 v45, v77
	v_pk_add_f32 v[40:41], v[44:45], v[40:41]
	v_pk_mul_f32 v[44:45], v[116:117], s[40:41] op_sel:[1,0] op_sel_hi:[0,0]
	v_pk_fma_f32 v[138:139], v[112:113], s[34:35], v[44:45] op_sel_hi:[1,0,1]
	v_pk_fma_f32 v[140:141], v[112:113], s[34:35], v[44:45] op_sel_hi:[1,0,1] neg_lo:[0,0,1] neg_hi:[0,0,1]
	v_mov_b32_e32 v44, v138
	v_mov_b32_e32 v45, v141
	v_pk_add_f32 v[4:5], v[44:45], v[4:5]
	v_pk_mul_f32 v[44:45], v[116:117], s[6:7] op_sel:[1,0] op_sel_hi:[0,0]
	v_pk_fma_f32 v[110:111], v[112:113], s[4:5], v[44:45] op_sel_hi:[1,0,1]
	v_pk_fma_f32 v[114:115], v[112:113], s[4:5], v[44:45] op_sel_hi:[1,0,1] neg_lo:[0,0,1] neg_hi:[0,0,1]
	;; [unrolled: 6-line block ×7, first 2 shown]
	v_mov_b32_e32 v44, v122
	v_mov_b32_e32 v45, v125
	v_pk_add_f32 v[16:17], v[44:45], v[16:17]
	v_pk_mul_f32 v[44:45], v[126:127], s[46:47] op_sel:[1,0] op_sel_hi:[0,0]
	v_accvgpr_write_b32 a21, v49
	v_pk_fma_f32 v[48:49], v[120:121], s[28:29], v[44:45] op_sel_hi:[1,0,1]
	v_pk_fma_f32 v[104:105], v[120:121], s[28:29], v[44:45] op_sel_hi:[1,0,1] neg_lo:[0,0,1] neg_hi:[0,0,1]
	v_mov_b32_e32 v44, v48
	v_mov_b32_e32 v45, v105
	v_pk_add_f32 v[40:41], v[44:45], v[40:41]
	v_pk_mul_f32 v[44:45], v[136:137], s[36:37] op_sel:[1,0] op_sel_hi:[0,0]
	v_pk_fma_f32 v[206:207], v[134:135], s[20:21], v[44:45] op_sel_hi:[1,0,1]
	v_pk_fma_f32 v[212:213], v[134:135], s[20:21], v[44:45] op_sel_hi:[1,0,1] neg_lo:[0,0,1] neg_hi:[0,0,1]
	v_mov_b32_e32 v44, v206
	v_mov_b32_e32 v45, v213
	v_pk_add_f32 v[4:5], v[44:45], v[4:5]
	v_pk_mul_f32 v[44:45], v[136:137], s[48:49] op_sel:[1,0] op_sel_hi:[0,0]
	;; [unrolled: 6-line block ×7, first 2 shown]
	v_pk_fma_f32 v[176:177], v[188:189], s[34:35], v[6:7] op_sel_hi:[1,0,1]
	v_pk_fma_f32 v[182:183], v[188:189], s[34:35], v[6:7] op_sel_hi:[1,0,1] neg_lo:[0,0,1] neg_hi:[0,0,1]
	v_mov_b32_e32 v6, v176
	v_mov_b32_e32 v7, v183
	s_mov_b32 s50, 0x3f4c4adb
	v_pk_add_f32 v[6:7], v[6:7], v[16:17]
	v_pk_mul_f32 v[16:17], v[196:197], s[50:51] op_sel:[1,0] op_sel_hi:[0,0]
	v_pk_fma_f32 v[158:159], v[188:189], s[20:21], v[16:17] op_sel_hi:[1,0,1]
	v_pk_fma_f32 v[160:161], v[188:189], s[20:21], v[16:17] op_sel_hi:[1,0,1] neg_lo:[0,0,1] neg_hi:[0,0,1]
	v_mov_b32_e32 v16, v158
	v_mov_b32_e32 v17, v161
	v_pk_add_f32 v[16:17], v[16:17], v[40:41]
	v_pk_mul_f32 v[40:41], v[154:155], s[14:15] op_sel:[1,0] op_sel_hi:[0,0]
	v_pk_fma_f32 v[238:239], v[146:147], s[2:3], v[40:41] op_sel_hi:[1,0,1]
	v_pk_fma_f32 v[240:241], v[146:147], s[2:3], v[40:41] op_sel_hi:[1,0,1] neg_lo:[0,0,1] neg_hi:[0,0,1]
	v_mov_b32_e32 v40, v238
	v_mov_b32_e32 v41, v241
	v_pk_add_f32 v[4:5], v[40:41], v[4:5]
	v_accvgpr_write_b32 a23, v49
	v_accvgpr_write_b32 a4, v4
	;; [unrolled: 1-line block ×3, first 2 shown]
	v_pk_mul_f32 v[4:5], v[154:155], s[16:17] op_sel:[1,0] op_sel_hi:[0,0]
	v_pk_fma_f32 v[218:219], v[146:147], s[10:11], v[4:5] op_sel_hi:[1,0,1]
	v_pk_fma_f32 v[220:221], v[146:147], s[10:11], v[4:5] op_sel_hi:[1,0,1] neg_lo:[0,0,1] neg_hi:[0,0,1]
	v_mov_b32_e32 v4, v218
	v_mov_b32_e32 v5, v221
	v_pk_add_f32 v[4:5], v[4:5], v[6:7]
	v_pk_mul_f32 v[6:7], v[50:51], s[52:53] op_sel_hi:[1,0]
	v_accvgpr_write_b32 a7, v5
	v_accvgpr_write_b32 a6, v4
	v_pk_mul_f32 v[4:5], v[154:155], s[26:27] op_sel:[1,0] op_sel_hi:[0,0]
	v_pk_fma_f32 v[172:173], v[146:147], s[22:23], v[4:5] op_sel_hi:[1,0,1]
	v_pk_fma_f32 v[174:175], v[146:147], s[22:23], v[4:5] op_sel_hi:[1,0,1] neg_lo:[0,0,1] neg_hi:[0,0,1]
	v_mov_b32_e32 v4, v172
	v_mov_b32_e32 v5, v175
	v_pk_add_f32 v[56:57], v[4:5], v[16:17]
	v_pk_mul_f32 v[4:5], v[46:47], s[24:25] op_sel_hi:[1,0]
	v_pk_fma_f32 v[184:185], v[100:101], s[10:11], v[6:7] op_sel:[0,0,1] op_sel_hi:[1,0,0]
	v_pk_fma_f32 v[178:179], v[18:19], s[18:19], v[4:5] op_sel:[0,0,1] op_sel_hi:[1,0,0]
	v_pk_fma_f32 v[180:181], v[18:19], s[18:19], v[4:5] op_sel:[0,0,1] op_sel_hi:[1,0,0] neg_lo:[0,0,1] neg_hi:[0,0,1]
	v_mov_b32_e32 v4, v178
	v_mov_b32_e32 v5, v181
	v_pk_fma_f32 v[186:187], v[100:101], s[10:11], v[6:7] op_sel:[0,0,1] op_sel_hi:[1,0,0] neg_lo:[0,0,1] neg_hi:[0,0,1]
	v_mov_b32_e32 v6, v184
	v_mov_b32_e32 v7, v187
	v_pk_add_f32 v[4:5], v[4:5], v[0:1]
	v_pk_mul_f32 v[16:17], v[196:197], s[6:7] op_sel:[1,0] op_sel_hi:[0,0]
	v_pk_add_f32 v[4:5], v[6:7], v[4:5]
	v_pk_mul_f32 v[6:7], v[62:63], s[26:27] op_sel_hi:[1,0]
	v_pk_fma_f32 v[252:253], v[188:189], s[4:5], v[16:17] op_sel_hi:[1,0,1] neg_lo:[0,0,1] neg_hi:[0,0,1]
	v_pk_fma_f32 v[190:191], v[52:53], s[22:23], v[6:7] op_sel:[0,0,1] op_sel_hi:[1,0,0]
	v_pk_fma_f32 v[192:193], v[52:53], s[22:23], v[6:7] op_sel:[0,0,1] op_sel_hi:[1,0,0] neg_lo:[0,0,1] neg_hi:[0,0,1]
	v_mov_b32_e32 v6, v190
	v_mov_b32_e32 v7, v193
	v_pk_add_f32 v[4:5], v[6:7], v[4:5]
	v_pk_mul_f32 v[6:7], v[116:117], s[46:47] op_sel:[1,0] op_sel_hi:[0,0]
	v_pk_fma_f32 v[198:199], v[112:113], s[28:29], v[6:7] op_sel_hi:[1,0,1]
	v_pk_fma_f32 v[200:201], v[112:113], s[28:29], v[6:7] op_sel_hi:[1,0,1] neg_lo:[0,0,1] neg_hi:[0,0,1]
	v_mov_b32_e32 v6, v198
	v_mov_b32_e32 v7, v201
	v_pk_add_f32 v[4:5], v[6:7], v[4:5]
	v_pk_mul_f32 v[6:7], v[126:127], s[6:7] op_sel:[1,0] op_sel_hi:[0,0]
	v_pk_fma_f32 v[202:203], v[120:121], s[4:5], v[6:7] op_sel_hi:[1,0,1]
	v_pk_fma_f32 v[204:205], v[120:121], s[4:5], v[6:7] op_sel_hi:[1,0,1] neg_lo:[0,0,1] neg_hi:[0,0,1]
	;; [unrolled: 6-line block ×5, first 2 shown]
	v_mov_b32_e32 v6, v228
	v_mov_b32_e32 v7, v231
	v_pk_add_f32 v[58:59], v[6:7], v[4:5]
	v_pk_mul_f32 v[4:5], v[46:47], s[36:37] op_sel_hi:[1,0]
	v_pk_mul_f32 v[6:7], v[50:51], s[48:49] op_sel_hi:[1,0]
	v_pk_fma_f32 v[44:45], v[18:19], s[20:21], v[4:5] op_sel:[0,0,1] op_sel_hi:[1,0,0]
	v_pk_fma_f32 v[226:227], v[18:19], s[20:21], v[4:5] op_sel:[0,0,1] op_sel_hi:[1,0,0] neg_lo:[0,0,1] neg_hi:[0,0,1]
	v_mov_b32_e32 v4, v44
	v_mov_b32_e32 v5, v227
	v_pk_fma_f32 v[40:41], v[100:101], s[18:19], v[6:7] op_sel:[0,0,1] op_sel_hi:[1,0,0]
	v_pk_fma_f32 v[232:233], v[100:101], s[18:19], v[6:7] op_sel:[0,0,1] op_sel_hi:[1,0,0] neg_lo:[0,0,1] neg_hi:[0,0,1]
	v_mov_b32_e32 v6, v40
	v_mov_b32_e32 v7, v233
	v_pk_add_f32 v[4:5], v[4:5], v[0:1]
	v_pk_mul_f32 v[48:49], v[154:155], s[30:31] op_sel:[1,0] op_sel_hi:[0,0]
	v_pk_add_f32 v[4:5], v[6:7], v[4:5]
	v_pk_mul_f32 v[6:7], v[62:63], s[38:39] op_sel_hi:[1,0]
	v_pk_fma_f32 v[254:255], v[146:147], s[28:29], v[48:49] op_sel_hi:[1,0,1] neg_lo:[0,0,1] neg_hi:[0,0,1]
	v_pk_fma_f32 v[80:81], v[52:53], s[2:3], v[6:7] op_sel:[0,0,1] op_sel_hi:[1,0,0]
	v_pk_fma_f32 v[236:237], v[52:53], s[2:3], v[6:7] op_sel:[0,0,1] op_sel_hi:[1,0,0] neg_lo:[0,0,1] neg_hi:[0,0,1]
	v_mov_b32_e32 v6, v80
	v_mov_b32_e32 v7, v237
	v_pk_add_f32 v[4:5], v[6:7], v[4:5]
	v_pk_mul_f32 v[6:7], v[116:117], s[16:17] op_sel:[1,0] op_sel_hi:[0,0]
	v_pk_fma_f32 v[88:89], v[112:113], s[10:11], v[6:7] op_sel_hi:[1,0,1]
	v_pk_fma_f32 v[242:243], v[112:113], s[10:11], v[6:7] op_sel_hi:[1,0,1] neg_lo:[0,0,1] neg_hi:[0,0,1]
	v_mov_b32_e32 v6, v88
	v_mov_b32_e32 v7, v243
	v_pk_add_f32 v[4:5], v[6:7], v[4:5]
	v_pk_mul_f32 v[6:7], v[126:127], s[42:43] op_sel:[1,0] op_sel_hi:[0,0]
	v_pk_fma_f32 v[90:91], v[120:121], s[34:35], v[6:7] op_sel_hi:[1,0,1]
	v_pk_fma_f32 v[248:249], v[120:121], s[34:35], v[6:7] op_sel_hi:[1,0,1] neg_lo:[0,0,1] neg_hi:[0,0,1]
	;; [unrolled: 6-line block ×3, first 2 shown]
	v_mov_b32_e32 v6, v94
	v_mov_b32_e32 v7, v251
	v_pk_add_f32 v[6:7], v[6:7], v[4:5]
	v_pk_fma_f32 v[4:5], v[188:189], s[4:5], v[16:17] op_sel_hi:[1,0,1]
	v_mov_b32_e32 v17, v253
	v_mov_b32_e32 v16, v4
	v_pk_add_f32 v[16:17], v[16:17], v[6:7]
	v_pk_fma_f32 v[6:7], v[146:147], s[28:29], v[48:49] op_sel_hi:[1,0,1]
	v_mov_b32_e32 v49, v255
	v_mov_b32_e32 v48, v6
	v_pk_add_f32 v[60:61], v[48:49], v[16:17]
	v_pk_mul_f32 v[16:17], v[196:197], s[26:27] op_sel:[1,0] op_sel_hi:[0,0]
	v_pk_fma_f32 v[196:197], v[188:189], s[22:23], v[16:17] op_sel_hi:[1,0,1]
	v_pk_fma_f32 v[188:189], v[188:189], s[22:23], v[16:17] op_sel_hi:[1,0,1] neg_lo:[0,0,1] neg_hi:[0,0,1]
	v_pk_mul_f32 v[16:17], v[46:47], s[16:17] op_sel_hi:[1,0]
	s_nop 0
	v_pk_fma_f32 v[46:47], v[18:19], s[10:11], v[16:17] op_sel:[0,0,1] op_sel_hi:[1,0,0]
	v_pk_fma_f32 v[98:99], v[18:19], s[10:11], v[16:17] op_sel:[0,0,1] op_sel_hi:[1,0,0] neg_lo:[0,0,1] neg_hi:[0,0,1]
	v_pk_mul_f32 v[16:17], v[50:51], s[30:31] op_sel_hi:[1,0]
	v_pk_mul_f32 v[18:19], v[126:127], s[38:39] op_sel:[1,0] op_sel_hi:[0,0]
	v_pk_fma_f32 v[48:49], v[100:101], s[28:29], v[16:17] op_sel:[0,0,1] op_sel_hi:[1,0,0]
	v_pk_fma_f32 v[100:101], v[100:101], s[28:29], v[16:17] op_sel:[0,0,1] op_sel_hi:[1,0,0] neg_lo:[0,0,1] neg_hi:[0,0,1]
	v_pk_mul_f32 v[16:17], v[62:63], s[40:41] op_sel_hi:[1,0]
	v_pk_fma_f32 v[54:55], v[120:121], s[2:3], v[18:19] op_sel_hi:[1,0,1] neg_lo:[0,0,1] neg_hi:[0,0,1]
	v_pk_fma_f32 v[50:51], v[52:53], s[34:35], v[16:17] op_sel:[0,0,1] op_sel_hi:[1,0,0]
	v_pk_fma_f32 v[102:103], v[52:53], s[34:35], v[16:17] op_sel:[0,0,1] op_sel_hi:[1,0,0] neg_lo:[0,0,1] neg_hi:[0,0,1]
	v_pk_mul_f32 v[16:17], v[116:117], s[50:51] op_sel:[1,0] op_sel_hi:[0,0]
	v_pk_fma_f32 v[52:53], v[112:113], s[20:21], v[16:17] op_sel_hi:[1,0,1]
	v_pk_fma_f32 v[16:17], v[112:113], s[20:21], v[16:17] op_sel_hi:[1,0,1] neg_lo:[0,0,1] neg_hi:[0,0,1]
	v_pk_fma_f32 v[112:113], v[120:121], s[2:3], v[18:19] op_sel_hi:[1,0,1]
	v_pk_mul_f32 v[18:19], v[136:137], s[6:7] op_sel:[1,0] op_sel_hi:[0,0]
	v_pk_fma_f32 v[136:137], v[134:135], s[4:5], v[18:19] op_sel_hi:[1,0,1]
	v_pk_fma_f32 v[116:117], v[134:135], s[4:5], v[18:19] op_sel_hi:[1,0,1] neg_lo:[0,0,1] neg_hi:[0,0,1]
	v_mov_b32_e32 v18, v46
	v_mov_b32_e32 v19, v99
	;; [unrolled: 1-line block ×4, first 2 shown]
	v_pk_add_f32 v[18:19], v[18:19], v[0:1]
	s_load_dwordx2 s[2:3], s[0:1], 0x20
	s_load_dwordx2 s[10:11], s[0:1], 0x8
	v_pk_add_f32 v[18:19], v[62:63], v[18:19]
	v_mov_b32_e32 v62, v50
	v_mov_b32_e32 v63, v103
	v_pk_add_f32 v[18:19], v[62:63], v[18:19]
	v_mov_b32_e32 v62, v52
	v_mov_b32_e32 v63, v17
	;; [unrolled: 3-line block ×5, first 2 shown]
	v_pk_add_f32 v[18:19], v[62:63], v[18:19]
	v_pk_mul_f32 v[62:63], v[154:155], s[6:7] op_sel:[1,0] op_sel_hi:[0,0]
	v_pk_fma_f32 v[126:127], v[146:147], s[4:5], v[62:63] op_sel_hi:[1,0,1]
	v_pk_fma_f32 v[134:135], v[146:147], s[4:5], v[62:63] op_sel_hi:[1,0,1] neg_lo:[0,0,1] neg_hi:[0,0,1]
	v_pk_mul_f32 v[62:63], v[154:155], s[24:25] op_sel:[1,0] op_sel_hi:[0,0]
	v_pk_fma_f32 v[154:155], v[146:147], s[18:19], v[62:63] op_sel_hi:[1,0,1]
	v_pk_fma_f32 v[120:121], v[146:147], s[18:19], v[62:63] op_sel_hi:[1,0,1] neg_lo:[0,0,1] neg_hi:[0,0,1]
	v_mov_b32_e32 v62, v154
	v_mov_b32_e32 v63, v121
	v_accvgpr_read_b32 v147, a1
	v_pk_add_f32 v[62:63], v[62:63], v[18:19]
	v_mov_b32_e32 v18, v126
	v_mov_b32_e32 v19, v135
	v_accvgpr_read_b32 v146, a0
	v_pk_add_f32 v[18:19], v[18:19], v[106:107]
	v_mul_lo_u16_e32 v40, 17, v146
	s_waitcnt lgkmcnt(0)
	s_barrier
	s_and_saveexec_b64 s[0:1], vcc
	s_cbranch_execz .LBB0_7
; %bb.6:
	v_pk_add_f32 v[2:3], v[2:3], v[0:1]
	v_accvgpr_read_b32 v4, a3
	v_pk_add_f32 v[2:3], v[28:29], v[2:3]
	v_mov_b32_e32 v253, v5
	v_pk_add_f32 v[2:3], v[30:31], v[2:3]
	v_add_lshl_u32 v6, v4, v40, 3
	v_pk_add_f32 v[2:3], v[20:21], v[2:3]
	v_accvgpr_read_b32 v4, a12
	v_pk_add_f32 v[2:3], v[22:23], v[2:3]
	v_mov_b32_e32 v73, v79
	v_pk_add_f32 v[2:3], v[8:9], v[2:3]
	v_accvgpr_read_b32 v79, a17
	v_pk_add_f32 v[2:3], v[10:11], v[2:3]
	v_accvgpr_read_b32 v8, a8
	v_accvgpr_read_b32 v9, a9
	;; [unrolled: 1-line block ×4, first 2 shown]
	v_pk_add_f32 v[2:3], v[8:9], v[2:3]
	v_accvgpr_read_b32 v5, a13
	v_pk_add_f32 v[2:3], v[10:11], v[2:3]
	v_mov_b32_e32 v75, v83
	v_pk_add_f32 v[2:3], v[12:13], v[2:3]
	v_accvgpr_read_b32 v83, a15
	v_pk_add_f32 v[2:3], v[14:15], v[2:3]
	v_accvgpr_read_b32 v109, a25
	v_pk_add_f32 v[2:3], v[24:25], v[2:3]
	v_mov_b32_e32 v141, v139
	v_pk_add_f32 v[2:3], v[26:27], v[2:3]
	v_mov_b32_e32 v167, v165
	;; [unrolled: 2-line block ×4, first 2 shown]
	v_pk_add_f32 v[2:3], v[4:5], v[2:3]
	v_pk_add_f32 v[4:5], v[78:79], v[0:1]
	v_mov_b32_e32 v135, v127
	v_pk_add_f32 v[4:5], v[82:83], v[4:5]
	v_mov_b32_e32 v71, v129
	;; [unrolled: 2-line block ×4, first 2 shown]
	v_pk_add_f32 v[4:5], v[166:167], v[4:5]
	v_accvgpr_read_b32 v93, a19
	v_pk_add_f32 v[4:5], v[212:213], v[4:5]
	v_mov_b32_e32 v115, v111
	v_pk_add_f32 v[4:5], v[246:247], v[4:5]
	v_accvgpr_read_b32 v97, a21
	v_pk_add_f32 v[4:5], v[134:135], v[4:5]
	ds_write2_b64 v6, v[2:3], v[4:5] offset1:1
	v_pk_add_f32 v[2:3], v[72:73], v[0:1]
	v_pk_add_f32 v[4:5], v[70:71], v[0:1]
	;; [unrolled: 1-line block ×7, first 2 shown]
	v_mov_b32_e32 v145, v143
	v_pk_add_f32 v[4:5], v[96:97], v[4:5]
	v_mov_b32_e32 v125, v123
	v_pk_add_f32 v[2:3], v[144:145], v[2:3]
	;; [unrolled: 2-line block ×7, first 2 shown]
	v_mov_b32_e32 v221, v219
	v_mov_b32_e32 v65, v149
	v_pk_add_f32 v[2:3], v[240:241], v[2:3]
	v_pk_add_f32 v[4:5], v[220:221], v[4:5]
	v_mov_b32_e32 v181, v179
	v_mov_b32_e32 v67, v157
	ds_write2_b64 v6, v[2:3], v[4:5] offset0:2 offset1:3
	v_pk_add_f32 v[2:3], v[64:65], v[0:1]
	v_pk_add_f32 v[4:5], v[180:181], v[0:1]
	v_mov_b32_e32 v187, v185
	v_mov_b32_e32 v77, v195
	v_pk_add_f32 v[2:3], v[66:67], v[2:3]
	v_pk_add_f32 v[4:5], v[186:187], v[4:5]
	v_mov_b32_e32 v193, v191
	v_mov_b32_e32 v87, v235
	v_pk_add_f32 v[2:3], v[76:77], v[2:3]
	v_pk_add_f32 v[4:5], v[192:193], v[4:5]
	v_mov_b32_e32 v201, v199
	v_pk_add_f32 v[2:3], v[86:87], v[2:3]
	v_accvgpr_read_b32 v105, a23
	v_pk_add_f32 v[4:5], v[200:201], v[4:5]
	v_mov_b32_e32 v205, v203
	v_pk_add_f32 v[2:3], v[104:105], v[2:3]
	v_mov_b32_e32 v133, v131
	;; [unrolled: 2-line block ×7, first 2 shown]
	v_mov_b32_e32 v99, v47
	v_mov_b32_e32 v227, v45
	v_pk_add_f32 v[2:3], v[174:175], v[2:3]
	v_pk_add_f32 v[4:5], v[230:231], v[4:5]
	v_mov_b32_e32 v101, v49
	v_mov_b32_e32 v233, v41
	ds_write2_b64 v6, v[2:3], v[4:5] offset0:4 offset1:5
	v_pk_add_f32 v[2:3], v[226:227], v[0:1]
	v_pk_add_f32 v[0:1], v[98:99], v[0:1]
	v_mov_b32_e32 v103, v51
	v_mov_b32_e32 v237, v81
	v_pk_add_f32 v[2:3], v[232:233], v[2:3]
	v_pk_add_f32 v[0:1], v[100:101], v[0:1]
	v_mov_b32_e32 v17, v53
	v_mov_b32_e32 v243, v89
	;; [unrolled: 4-line block ×4, first 2 shown]
	v_pk_add_f32 v[2:3], v[248:249], v[2:3]
	v_pk_add_f32 v[0:1], v[54:55], v[0:1]
	v_mov_b32_e32 v189, v197
	v_pk_add_f32 v[2:3], v[250:251], v[2:3]
	v_pk_add_f32 v[0:1], v[116:117], v[0:1]
	v_mov_b32_e32 v121, v155
	v_mov_b32_e32 v255, v7
	v_pk_add_f32 v[2:3], v[252:253], v[2:3]
	v_pk_add_f32 v[0:1], v[188:189], v[0:1]
	;; [unrolled: 1-line block ×4, first 2 shown]
	ds_write2_b64 v6, v[2:3], v[0:1] offset0:6 offset1:7
	ds_write2_b64 v6, v[36:37], v[38:39] offset0:8 offset1:9
	;; [unrolled: 1-line block ×4, first 2 shown]
	v_accvgpr_read_b32 v0, a4
	v_accvgpr_read_b32 v2, a6
	;; [unrolled: 1-line block ×4, first 2 shown]
	ds_write2_b64 v6, v[2:3], v[0:1] offset0:14 offset1:15
	ds_write_b64 v6, v[18:19] offset:128
.LBB0_7:
	s_or_b64 exec, exec, s[0:1]
	v_accvgpr_read_b32 v31, a3
	v_add_lshl_u32 v197, v31, v146, 3
	s_waitcnt lgkmcnt(0)
	s_barrier
	ds_read2_b64 v[0:3], v197 offset1:34
	ds_read2_b64 v[12:15], v197 offset0:153 offset1:187
	ds_read2_b64 v[4:7], v197 offset0:68 offset1:102
	;; [unrolled: 1-line block ×3, first 2 shown]
	v_cmp_gt_u16_e64 s[0:1], 17, v146
	s_and_saveexec_b64 s[4:5], s[0:1]
	s_cbranch_execz .LBB0_9
; %bb.8:
	v_add_u32_e32 v16, 0x400, v197
	ds_read2_b64 v[36:39], v16 offset0:8 offset1:161
.LBB0_9:
	s_or_b64 exec, exec, s[4:5]
	s_movk_i32 s4, 0xffef
	s_mov_b32 s5, -1
	v_lshl_add_u64 v[16:17], v[146:147], 0, s[4:5]
	v_cndmask_b32_e64 v21, v17, 0, s[0:1]
	v_cndmask_b32_e64 v20, v16, v146, s[0:1]
	v_lshl_add_u64 v[16:17], v[20:21], 3, s[10:11]
	v_add_u16_e32 v21, 34, v146
	s_movk_i32 s4, 0xf1
	v_add_u16_e32 v25, 0x44, v146
	v_add_u16_e32 v28, 0x66, v146
	v_mul_lo_u16_sdwa v22, v21, s4 dst_sel:DWORD dst_unused:UNUSED_PAD src0_sel:BYTE_0 src1_sel:DWORD
	v_mul_lo_u16_sdwa v26, v25, s4 dst_sel:DWORD dst_unused:UNUSED_PAD src0_sel:BYTE_0 src1_sel:DWORD
	v_mul_lo_u16_sdwa v29, v28, s4 dst_sel:DWORD dst_unused:UNUSED_PAD src0_sel:BYTE_0 src1_sel:DWORD
	v_lshrrev_b16_e32 v22, 12, v22
	v_lshrrev_b16_e32 v26, 12, v26
	;; [unrolled: 1-line block ×3, first 2 shown]
	v_mul_lo_u16_e32 v23, 17, v22
	v_mul_lo_u16_e32 v27, 17, v26
	v_mul_lo_u16_e32 v30, 17, v29
	v_sub_u16_e32 v21, v21, v23
	v_mov_b32_e32 v23, 3
	v_sub_u16_e32 v25, v25, v27
	v_sub_u16_e32 v28, v28, v30
	v_lshlrev_b32_sdwa v24, v23, v21 dst_sel:DWORD dst_unused:UNUSED_PAD src0_sel:DWORD src1_sel:BYTE_0
	v_lshlrev_b32_sdwa v27, v23, v25 dst_sel:DWORD dst_unused:UNUSED_PAD src0_sel:DWORD src1_sel:BYTE_0
	;; [unrolled: 1-line block ×3, first 2 shown]
	global_load_dwordx2 v[52:53], v[16:17], off
	global_load_dwordx2 v[50:51], v24, s[10:11]
	global_load_dwordx2 v[48:49], v27, s[10:11]
	;; [unrolled: 1-line block ×3, first 2 shown]
	v_add_u16_e32 v16, 0x88, v146
	v_mul_lo_u16_sdwa v17, v16, s4 dst_sel:DWORD dst_unused:UNUSED_PAD src0_sel:BYTE_0 src1_sel:DWORD
	v_lshrrev_b16_e32 v17, 12, v17
	v_mul_lo_u16_e32 v17, 17, v17
	v_sub_u16_e32 v140, v16, v17
	v_and_b32_e32 v16, 0xff, v140
	v_lshlrev_b32_e32 v17, 3, v16
	global_load_dwordx2 v[226:227], v17, s[10:11]
	s_load_dwordx4 s[4:7], s[2:3], 0x0
	v_cmp_lt_u16_e64 s[2:3], 16, v146
	v_mul_u32_u24_e32 v23, 34, v29
	s_waitcnt lgkmcnt(0)
	v_cndmask_b32_e64 v17, 0, 34, s[2:3]
	v_add_u32_e32 v17, v20, v17
	v_mul_u32_u24_e32 v20, 34, v26
	v_add_lshl_u32 v143, v31, v17, 3
	v_mad_legacy_u16 v17, v22, 34, v21
	v_add_u32_sdwa v20, v20, v25 dst_sel:DWORD dst_unused:UNUSED_PAD src0_sel:DWORD src1_sel:BYTE_0
	v_add_u32_sdwa v21, v23, v28 dst_sel:DWORD dst_unused:UNUSED_PAD src0_sel:DWORD src1_sel:BYTE_0
	v_add_lshl_u32 v142, v31, v20, 3
	v_add_lshl_u32 v141, v31, v21, 3
	v_and_b32_e32 v17, 0xff, v17
	s_barrier
	v_add_lshl_u32 v144, v31, v17, 3
	s_waitcnt vmcnt(4)
	v_pk_mul_f32 v[20:21], v[12:13], v[52:53] op_sel:[0,1]
	s_nop 0
	v_pk_fma_f32 v[22:23], v[12:13], v[52:53], v[20:21] op_sel:[0,0,1] op_sel_hi:[1,1,0] neg_lo:[0,0,1] neg_hi:[0,0,1]
	v_pk_fma_f32 v[12:13], v[12:13], v[52:53], v[20:21] op_sel:[0,0,1] op_sel_hi:[1,0,0]
	s_waitcnt vmcnt(2)
	v_pk_mul_f32 v[20:21], v[8:9], v[48:49] op_sel:[0,1]
	v_mov_b32_e32 v23, v13
	v_pk_mul_f32 v[12:13], v[14:15], v[50:51] op_sel:[0,1]
	s_waitcnt vmcnt(1)
	v_pk_mul_f32 v[24:25], v[10:11], v[46:47] op_sel:[0,1]
	v_pk_add_f32 v[22:23], v[0:1], v[22:23] neg_lo:[0,1] neg_hi:[0,1]
	v_pk_fma_f32 v[28:29], v[14:15], v[50:51], v[12:13] op_sel:[0,0,1] op_sel_hi:[1,1,0] neg_lo:[0,0,1] neg_hi:[0,0,1]
	v_pk_fma_f32 v[12:13], v[14:15], v[50:51], v[12:13] op_sel:[0,0,1] op_sel_hi:[1,0,0]
	v_pk_fma_f32 v[14:15], v[8:9], v[48:49], v[20:21] op_sel:[0,0,1] op_sel_hi:[1,1,0] neg_lo:[0,0,1] neg_hi:[0,0,1]
	s_waitcnt vmcnt(0)
	v_pk_mul_f32 v[26:27], v[38:39], v[226:227] op_sel:[1,0]
	v_pk_fma_f32 v[8:9], v[8:9], v[48:49], v[20:21] op_sel:[0,0,1] op_sel_hi:[1,0,0]
	v_pk_fma_f32 v[20:21], v[10:11], v[46:47], v[24:25] op_sel:[0,0,1] op_sel_hi:[1,1,0] neg_lo:[0,0,1] neg_hi:[0,0,1]
	v_pk_fma_f32 v[10:11], v[10:11], v[46:47], v[24:25] op_sel:[0,0,1] op_sel_hi:[1,0,0]
	v_pk_fma_f32 v[24:25], v[38:39], v[226:227], v[26:27] op_sel:[0,0,1] op_sel_hi:[1,1,0] neg_lo:[0,0,1] neg_hi:[0,0,1]
	v_pk_fma_f32 v[26:27], v[38:39], v[226:227], v[26:27] op_sel:[0,0,1] op_sel_hi:[0,1,0]
	v_pk_fma_f32 v[0:1], v[0:1], 2.0, v[22:23] op_sel_hi:[1,0,1] neg_lo:[0,0,1] neg_hi:[0,0,1]
	v_mov_b32_e32 v29, v13
	v_mov_b32_e32 v15, v9
	;; [unrolled: 1-line block ×4, first 2 shown]
	ds_write2_b64 v143, v[0:1], v[22:23] offset1:17
	v_pk_add_f32 v[0:1], v[2:3], v[28:29] neg_lo:[0,1] neg_hi:[0,1]
	v_pk_add_f32 v[8:9], v[4:5], v[14:15] neg_lo:[0,1] neg_hi:[0,1]
	;; [unrolled: 1-line block ×4, first 2 shown]
	v_pk_fma_f32 v[2:3], v[2:3], 2.0, v[0:1] op_sel_hi:[1,0,1] neg_lo:[0,0,1] neg_hi:[0,0,1]
	v_pk_fma_f32 v[4:5], v[4:5], 2.0, v[8:9] op_sel_hi:[1,0,1] neg_lo:[0,0,1] neg_hi:[0,0,1]
	;; [unrolled: 1-line block ×3, first 2 shown]
	ds_write2_b64 v144, v[2:3], v[0:1] offset1:17
	ds_write2_b64 v142, v[4:5], v[8:9] offset1:17
	;; [unrolled: 1-line block ×3, first 2 shown]
	s_mov_b64 s[2:3], exec
	v_accvgpr_read_b32 v149, a5
	v_accvgpr_read_b32 v151, a7
	s_and_b64 s[14:15], s[2:3], s[0:1]
	v_accvgpr_read_b32 v148, a4
	v_accvgpr_read_b32 v150, a6
	s_mov_b64 exec, s[14:15]
	s_cbranch_execz .LBB0_11
; %bb.10:
	v_add_lshl_u32 v2, v31, v16, 3
	v_pk_fma_f32 v[0:1], v[36:37], 2.0, v[20:21] op_sel_hi:[1,0,1] neg_lo:[0,0,1] neg_hi:[0,0,1]
	v_add_u32_e32 v2, 0x800, v2
	ds_write2_b64 v2, v[0:1], v[20:21] offset0:16 offset1:33
.LBB0_11:
	s_or_b64 exec, exec, s[2:3]
	v_lshlrev_b32_e32 v16, 6, v146
	s_waitcnt lgkmcnt(0)
	s_barrier
	global_load_dwordx4 v[12:15], v16, s[10:11] offset:136
	global_load_dwordx4 v[8:11], v16, s[10:11] offset:152
	global_load_dwordx4 v[4:7], v16, s[10:11] offset:168
	global_load_dwordx4 v[0:3], v16, s[10:11] offset:184
	ds_read2_b64 v[22:25], v197 offset0:68 offset1:102
	ds_read2_b64 v[26:29], v197 offset0:136 offset1:170
	;; [unrolled: 1-line block ×3, first 2 shown]
	ds_read2_b64 v[34:37], v197 offset1:34
	ds_read_b64 v[16:17], v197 offset:2176
	s_mov_b32 s18, 0x3f248dbb
	s_mov_b32 s19, 0x3f7c1c5c
	;; [unrolled: 1-line block ×11, first 2 shown]
	s_waitcnt vmcnt(3) lgkmcnt(1)
	v_pk_mul_f32 v[38:39], v[36:37], v[12:13] op_sel:[0,1]
	v_mov_b32_e32 v54, v15
	s_waitcnt vmcnt(2)
	v_pk_mul_f32 v[64:65], v[24:25], v[8:9] op_sel:[0,1]
	v_mov_b32_e32 v66, v11
	s_waitcnt vmcnt(1)
	;; [unrolled: 3-line block ×3, first 2 shown]
	v_pk_mul_f32 v[72:73], v[32:33], v[0:1] op_sel:[0,1]
	v_mov_b32_e32 v74, v3
	v_pk_fma_f32 v[76:77], v[36:37], v[12:13], v[38:39] op_sel:[0,0,1] op_sel_hi:[1,1,0] neg_lo:[0,0,1] neg_hi:[0,0,1]
	v_pk_fma_f32 v[36:37], v[36:37], v[12:13], v[38:39] op_sel:[0,0,1] op_sel_hi:[1,0,0]
	v_pk_mul_f32 v[38:39], v[22:23], v[54:55] op_sel_hi:[1,0]
	v_pk_fma_f32 v[54:55], v[24:25], v[8:9], v[64:65] op_sel:[0,0,1] op_sel_hi:[1,1,0] neg_lo:[0,0,1] neg_hi:[0,0,1]
	v_pk_fma_f32 v[24:25], v[24:25], v[8:9], v[64:65] op_sel:[0,0,1] op_sel_hi:[1,0,0]
	v_pk_mul_f32 v[64:65], v[26:27], v[66:67] op_sel_hi:[1,0]
	;; [unrolled: 3-line block ×3, first 2 shown]
	v_pk_fma_f32 v[70:71], v[32:33], v[0:1], v[72:73] op_sel:[1,0,0] op_sel_hi:[0,1,1]
	v_pk_fma_f32 v[32:33], v[32:33], v[0:1], v[72:73] op_sel:[1,0,0] op_sel_hi:[0,0,1] neg_lo:[0,0,1] neg_hi:[0,0,1]
	s_waitcnt lgkmcnt(0)
	v_pk_mul_f32 v[72:73], v[16:17], v[74:75] op_sel_hi:[1,0]
	v_mov_b32_e32 v77, v37
	v_pk_fma_f32 v[36:37], v[22:23], v[14:15], v[38:39] op_sel:[1,0,0] op_sel_hi:[0,1,1]
	v_pk_fma_f32 v[22:23], v[22:23], v[14:15], v[38:39] op_sel:[1,0,0] op_sel_hi:[0,0,1] neg_lo:[0,0,1] neg_hi:[0,0,1]
	v_mov_b32_e32 v55, v25
	v_pk_fma_f32 v[38:39], v[26:27], v[10:11], v[64:65] op_sel:[0,0,1] op_sel_hi:[1,1,0] neg_lo:[0,0,1] neg_hi:[0,0,1]
	v_pk_fma_f32 v[24:25], v[26:27], v[10:11], v[64:65] op_sel:[0,0,1] op_sel_hi:[1,0,0]
	v_mov_b32_e32 v67, v29
	v_pk_fma_f32 v[26:27], v[30:31], v[6:7], v[68:69] op_sel:[0,0,1] op_sel_hi:[1,1,0] neg_lo:[0,0,1] neg_hi:[0,0,1]
	v_pk_fma_f32 v[28:29], v[30:31], v[6:7], v[68:69] op_sel:[0,0,1] op_sel_hi:[1,0,0]
	v_pk_fma_f32 v[30:31], v[16:17], v[2:3], v[72:73] op_sel:[0,0,1] op_sel_hi:[1,1,0] neg_lo:[0,0,1] neg_hi:[0,0,1]
	v_pk_fma_f32 v[16:17], v[16:17], v[2:3], v[72:73] op_sel:[0,0,1] op_sel_hi:[1,0,0]
	v_mov_b32_e32 v71, v33
	v_mov_b32_e32 v37, v23
	;; [unrolled: 1-line block ×5, first 2 shown]
	v_pk_add_f32 v[22:23], v[36:37], v[70:71]
	v_pk_add_f32 v[32:33], v[76:77], v[30:31] neg_lo:[0,1] neg_hi:[0,1]
	v_pk_add_f32 v[36:37], v[36:37], v[70:71] neg_lo:[0,1] neg_hi:[0,1]
	v_pk_add_f32 v[16:17], v[76:77], v[30:31]
	v_pk_add_f32 v[68:69], v[54:55], v[26:27]
	v_pk_add_f32 v[24:25], v[54:55], v[26:27] neg_lo:[0,1] neg_hi:[0,1]
	v_pk_add_f32 v[54:55], v[38:39], v[66:67] neg_lo:[0,1] neg_hi:[0,1]
	v_mov_b32_e32 v28, v36
	v_mov_b32_e32 v29, v32
	v_pk_add_f32 v[70:71], v[38:39], v[66:67]
	v_mov_b32_e32 v26, v33
	v_mov_b32_e32 v27, v37
	v_pk_mul_f32 v[30:31], v[54:55], s[22:23] op_sel:[1,0] op_sel_hi:[0,0]
	v_pk_mul_f32 v[64:65], v[54:55], s[26:27] op_sel:[1,0] op_sel_hi:[0,0]
	v_pk_fma_f32 v[72:73], v[16:17], s[10:11], v[34:35] op_sel_hi:[1,0,1]
	v_pk_mul_f32 v[28:29], v[28:29], s[24:25]
	v_pk_mul_f32 v[24:25], v[24:25], s[2:3] op_sel_hi:[1,0]
	v_pk_fma_f32 v[30:31], v[32:33], s[26:27], v[30:31] op_sel:[1,0,0] op_sel_hi:[0,0,1]
	v_pk_fma_f32 v[64:65], v[36:37], s[22:23], v[64:65] op_sel_hi:[1,0,1] neg_lo:[0,0,1] neg_hi:[0,0,1]
	v_pk_fma_f32 v[72:73], v[22:23], s[14:15], v[72:73] op_sel:[1,0,0] op_sel_hi:[0,0,1]
	v_pk_fma_f32 v[26:27], v[26:27], s[18:19], v[28:29]
	v_pk_fma_f32 v[80:81], v[70:71], s[10:11], v[34:35] op_sel_hi:[1,0,1]
	v_pk_add_f32 v[28:29], v[30:31], v[24:25] op_sel:[0,1] op_sel_hi:[1,0] neg_lo:[0,1] neg_hi:[0,1]
	v_pk_add_f32 v[30:31], v[24:25], v[64:65] op_sel:[1,0] op_sel_hi:[0,1]
	v_pk_fma_f32 v[64:65], v[68:69], 0.5, v[72:73] op_sel_hi:[1,0,1] neg_lo:[1,0,0] neg_hi:[1,0,0]
	v_pk_add_f32 v[24:25], v[24:25], v[26:27] op_sel:[1,0] op_sel_hi:[0,1]
	v_pk_fma_f32 v[80:81], v[16:17], s[14:15], v[80:81] op_sel_hi:[1,0,1]
	v_pk_fma_f32 v[24:25], v[54:55], s[20:21], v[24:25] op_sel:[1,0,0] op_sel_hi:[0,0,1]
	v_pk_fma_f32 v[64:65], v[70:71], s[16:17], v[64:65] op_sel_hi:[1,0,1] neg_lo:[1,0,0] neg_hi:[1,0,0]
	v_pk_fma_f32 v[80:81], v[68:69], 0.5, v[80:81] op_sel_hi:[1,0,1] neg_lo:[1,0,0] neg_hi:[1,0,0]
	v_pk_fma_f32 v[26:27], v[36:37], s[20:21], v[28:29] op_sel_hi:[1,0,1]
	v_pk_add_f32 v[78:79], v[64:65], v[24:25]
	v_pk_add_f32 v[64:65], v[64:65], v[24:25] neg_lo:[0,1] neg_hi:[0,1]
	v_pk_fma_f32 v[80:81], v[22:23], s[16:17], v[80:81] op_sel:[1,0,0] op_sel_hi:[0,0,1] neg_lo:[1,0,0] neg_hi:[1,0,0]
	v_pk_fma_f32 v[72:73], v[32:33], s[20:21], v[30:31] op_sel:[1,0,0] op_sel_hi:[0,0,1]
	v_add_f32_e32 v30, v24, v24
	v_add_f32_e32 v77, v25, v25
	v_pk_add_f32 v[82:83], v[80:81], v[26:27]
	v_pk_add_f32 v[80:81], v[80:81], v[26:27] neg_lo:[0,1] neg_hi:[0,1]
	v_mov_b32_e32 v76, v78
	v_mov_b32_e32 v31, v65
	v_add_f32_e32 v28, v26, v26
	v_add_f32_e32 v75, v27, v27
	v_mov_b32_e32 v25, v65
	v_pk_add_f32 v[30:31], v[78:79], v[30:31] neg_lo:[0,1] neg_hi:[0,1]
	v_pk_add_f32 v[64:65], v[76:77], v[64:65]
	v_mov_b32_e32 v74, v82
	v_mov_b32_e32 v29, v81
	v_pk_add_f32 v[32:33], v[54:55], v[32:33] op_sel:[1,1] op_sel_hi:[0,0]
	v_mov_b32_e32 v31, v65
	v_pk_add_f32 v[28:29], v[82:83], v[28:29] neg_lo:[0,1] neg_hi:[0,1]
	v_pk_add_f32 v[64:65], v[74:75], v[80:81]
	v_pk_add_f32 v[36:37], v[32:33], v[36:37] neg_lo:[0,1] neg_hi:[0,1]
	v_pk_add_f32 v[32:33], v[22:23], v[16:17] op_sel:[1,0] op_sel_hi:[0,1]
	v_mov_b32_e32 v29, v65
	v_pk_add_f32 v[64:65], v[70:71], v[32:33]
	v_pk_add_f32 v[32:33], v[68:69], v[32:33]
	v_pk_fma_f32 v[22:23], v[22:23], s[10:11], v[34:35] op_sel:[1,0,0] op_sel_hi:[0,0,1]
	v_pk_add_f32 v[74:75], v[38:39], v[32:33]
	v_pk_add_f32 v[32:33], v[68:69], v[34:35]
	v_pk_fma_f32 v[22:23], v[70:71], s[14:15], v[22:23] op_sel_hi:[1,0,1]
	v_pk_fma_f32 v[38:39], v[64:65], 0.5, v[32:33] op_sel_hi:[1,0,1] neg_lo:[1,0,0] neg_hi:[1,0,0]
	v_pk_fma_f32 v[22:23], v[68:69], 0.5, v[22:23] op_sel_hi:[1,0,1] neg_lo:[1,0,0] neg_hi:[1,0,0]
	v_pk_mul_f32 v[54:55], v[36:37], s[2:3] op_sel_hi:[1,0]
	v_pk_fma_f32 v[32:33], v[36:37], s[2:3], v[38:39] op_sel_hi:[1,0,1]
	v_pk_fma_f32 v[38:39], v[36:37], s[2:3], v[38:39] op_sel_hi:[1,0,1] neg_lo:[1,0,0] neg_hi:[1,0,0]
	v_pk_add_f32 v[36:37], v[66:67], v[74:75]
	v_pk_fma_f32 v[16:17], v[16:17], s[16:17], v[22:23] op_sel_hi:[1,0,1] neg_lo:[1,0,0] neg_hi:[1,0,0]
	v_pk_add_f32 v[64:65], v[36:37], v[34:35]
	v_pk_add_f32 v[34:35], v[16:17], v[72:73]
	v_pk_add_f32 v[36:37], v[16:17], v[72:73] neg_lo:[0,1] neg_hi:[0,1]
	v_accvgpr_read_b32 v16, a2
	v_mov_b32_e32 v38, v32
	v_mov_b32_e32 v36, v34
	v_lshl_add_u32 v196, v146, 3, v16
	v_mov_b32_e32 v24, v78
	v_mov_b32_e32 v26, v82
	;; [unrolled: 1-line block ×4, first 2 shown]
	v_fmac_f32_e32 v38, -2.0, v54
	v_fmac_f32_e32 v39, 2.0, v55
	v_mov_b32_e32 v35, v37
	v_fmac_f32_e32 v36, -2.0, v72
	v_fmac_f32_e32 v37, 2.0, v73
	v_add_u32_e32 v16, 0x400, v196
	ds_write_b64 v196, v[64:65]
	ds_write2_b64 v196, v[24:25], v[26:27] offset0:34 offset1:68
	ds_write2_b64 v196, v[32:33], v[34:35] offset0:102 offset1:136
	;; [unrolled: 1-line block ×4, first 2 shown]
	s_waitcnt lgkmcnt(0)
	s_barrier
	s_and_saveexec_b64 s[2:3], vcc
	s_cbranch_execz .LBB0_13
; %bb.12:
	global_load_dwordx2 v[16:17], v43, s[8:9] offset:2448
	s_add_u32 s10, s8, 0x990
	s_addc_u32 s11, s9, 0
	global_load_dwordx2 v[22:23], v43, s[10:11] offset:144
	global_load_dwordx2 v[54:55], v43, s[10:11] offset:288
	;; [unrolled: 1-line block ×14, first 2 shown]
	ds_read_b64 v[66:67], v196
	global_load_dwordx2 v[118:119], v43, s[10:11] offset:2160
	global_load_dwordx2 v[120:121], v43, s[10:11] offset:2304
	s_waitcnt vmcnt(16) lgkmcnt(0)
	v_mul_f32_e32 v41, v67, v17
	v_mul_f32_e32 v69, v66, v17
	v_fma_f32 v68, v66, v16, -v41
	v_fmac_f32_e32 v69, v67, v16
	ds_write_b64 v196, v[68:69]
	ds_read2_b64 v[66:69], v196 offset0:18 offset1:36
	ds_read2_b64 v[70:73], v196 offset0:54 offset1:72
	;; [unrolled: 1-line block ×7, first 2 shown]
	s_waitcnt vmcnt(15) lgkmcnt(6)
	v_mul_f32_e32 v16, v67, v23
	v_mul_f32_e32 v17, v66, v23
	s_waitcnt vmcnt(14)
	v_mul_f32_e32 v41, v69, v55
	v_mul_f32_e32 v23, v68, v55
	s_waitcnt vmcnt(13) lgkmcnt(5)
	v_mul_f32_e32 v44, v71, v95
	v_mul_f32_e32 v55, v70, v95
	s_waitcnt vmcnt(12)
	v_mul_f32_e32 v45, v73, v97
	v_mul_f32_e32 v95, v72, v97
	;; [unrolled: 6-line block ×6, first 2 shown]
	v_fma_f32 v16, v66, v22, -v16
	v_fmac_f32_e32 v17, v67, v22
	v_fma_f32 v22, v68, v54, -v41
	v_fmac_f32_e32 v23, v69, v54
	v_fma_f32 v54, v70, v94, -v44
	v_fmac_f32_e32 v55, v71, v94
	v_fma_f32 v94, v72, v96, -v45
	v_fmac_f32_e32 v95, v73, v96
	v_fma_f32 v96, v74, v98, -v122
	v_fmac_f32_e32 v97, v75, v98
	v_fma_f32 v98, v76, v100, -v123
	v_fmac_f32_e32 v99, v77, v100
	v_fma_f32 v100, v78, v102, -v124
	v_fmac_f32_e32 v101, v79, v102
	v_fma_f32 v102, v80, v104, -v125
	v_fmac_f32_e32 v103, v81, v104
	v_fma_f32 v104, v82, v106, -v126
	v_fmac_f32_e32 v105, v83, v106
	v_fma_f32 v106, v84, v108, -v127
	v_fmac_f32_e32 v107, v85, v108
	v_fma_f32 v108, v86, v110, -v128
	v_fmac_f32_e32 v109, v87, v110
	v_fma_f32 v110, v88, v112, -v129
	v_fmac_f32_e32 v111, v89, v112
	ds_write2_b64 v196, v[16:17], v[22:23] offset0:18 offset1:36
	ds_write2_b64 v196, v[54:55], v[94:95] offset0:54 offset1:72
	;; [unrolled: 1-line block ×6, first 2 shown]
	v_add_u32_e32 v41, 0x800, v196
	ds_read2_b64 v[66:69], v41 offset0:14 offset1:32
	s_waitcnt vmcnt(3) lgkmcnt(7)
	v_mul_f32_e32 v130, v91, v115
	v_mul_f32_e32 v113, v90, v115
	s_waitcnt vmcnt(2)
	v_mul_f32_e32 v115, v93, v117
	v_mul_f32_e32 v17, v92, v117
	v_fma_f32 v112, v90, v114, -v130
	v_fmac_f32_e32 v113, v91, v114
	v_fma_f32 v16, v92, v116, -v115
	v_fmac_f32_e32 v17, v93, v116
	ds_write2_b64 v196, v[112:113], v[16:17] offset0:234 offset1:252
	s_waitcnt vmcnt(1) lgkmcnt(1)
	v_mul_f32_e32 v16, v67, v119
	v_mul_f32_e32 v17, v66, v119
	s_waitcnt vmcnt(0)
	v_mul_f32_e32 v22, v69, v121
	v_mul_f32_e32 v23, v68, v121
	v_fma_f32 v16, v66, v118, -v16
	v_fmac_f32_e32 v17, v67, v118
	v_fma_f32 v22, v68, v120, -v22
	v_fmac_f32_e32 v23, v69, v120
	ds_write2_b64 v41, v[16:17], v[22:23] offset0:14 offset1:32
.LBB0_13:
	s_or_b64 exec, exec, s[2:3]
	s_waitcnt lgkmcnt(0)
	s_barrier
	s_and_saveexec_b64 s[2:3], vcc
	s_cbranch_execz .LBB0_15
; %bb.14:
	v_add_u32_e32 v16, 0x800, v196
	ds_read_b64 v[64:65], v196
	ds_read2_b64 v[32:35], v196 offset0:54 offset1:72
	ds_read2_b64 v[24:27], v196 offset0:18 offset1:36
	;; [unrolled: 1-line block ×8, first 2 shown]
	s_waitcnt lgkmcnt(3)
	v_mov_b64_e32 v[62:63], v[22:23]
	s_waitcnt lgkmcnt(2)
	v_mov_b64_e32 v[60:61], v[54:55]
	v_mov_b64_e32 v[58:59], v[56:57]
	s_waitcnt lgkmcnt(1)
	v_mov_b64_e32 v[148:149], v[16:17]
	s_waitcnt lgkmcnt(0)
	v_mov_b64_e32 v[150:151], v[68:69]
	v_mov_b64_e32 v[56:57], v[66:67]
.LBB0_15:
	s_or_b64 exec, exec, s[2:3]
	v_pk_add_f32 v[96:97], v[18:19], v[24:25]
	v_pk_add_f32 v[98:99], v[24:25], v[18:19] neg_lo:[0,1] neg_hi:[0,1]
	s_mov_b32 s36, 0xbe3c28d5
	v_pk_add_f32 v[16:17], v[26:27], v[148:149] neg_lo:[0,1] neg_hi:[0,1]
	v_pk_add_f32 v[92:93], v[26:27], v[148:149]
	v_mov_b32_e32 v128, v99
	v_mov_b32_e32 v129, v97
	s_mov_b32 s37, 0xbf7ba420
	s_mov_b32 s50, 0x3eb8f4ab
	v_mov_b32_e32 v22, v92
	v_mov_b32_e32 v92, v17
	v_pk_mul_f32 v[128:129], v[128:129], s[36:37]
	v_mov_b32_e32 v130, v96
	v_mov_b32_e32 v131, v98
	s_mov_b32 s20, s37
	s_mov_b32 s21, s36
	;; [unrolled: 1-line block ×3, first 2 shown]
	v_mov_b32_e32 v23, v16
	v_pk_fma_f32 v[132:133], v[130:131], s[20:21], v[128:129]
	v_pk_fma_f32 v[134:135], v[130:131], s[20:21], v[128:129] neg_lo:[1,0,0] neg_hi:[1,0,0]
	v_pk_fma_f32 v[128:129], v[130:131], s[20:21], v[128:129] neg_lo:[0,0,1] neg_hi:[0,0,1]
	v_pk_mul_f32 v[130:131], v[92:93], s[50:51]
	s_mov_b32 s16, s51
	s_mov_b32 s17, s50
	v_pk_add_f32 v[94:95], v[32:33], v[150:151] neg_lo:[0,1] neg_hi:[0,1]
	s_mov_b32 s30, 0xbf06c442
	v_mov_b32_e32 v129, v133
	v_pk_fma_f32 v[136:137], v[22:23], s[16:17], v[130:131]
	v_pk_fma_f32 v[138:139], v[22:23], s[16:17], v[130:131] neg_lo:[1,0,0] neg_hi:[1,0,0]
	v_pk_fma_f32 v[130:131], v[22:23], s[16:17], v[130:131] neg_lo:[0,0,1] neg_hi:[0,0,1]
	v_pk_add_f32 v[90:91], v[150:151], v[32:33]
	v_pk_add_f32 v[88:89], v[34:35], v[56:57] neg_lo:[0,1] neg_hi:[0,1]
	s_mov_b32 s18, 0xbf59a7d5
	v_pk_mul_f32 v[16:17], v[94:95], s[30:31] op_sel_hi:[1,0]
	s_mov_b32 s26, 0x3f2c7751
	v_pk_add_f32 v[128:129], v[64:65], v[128:129]
	v_mov_b32_e32 v131, v137
	v_mov_b32_e32 v133, v135
	v_pk_add_f32 v[86:87], v[56:57], v[34:35]
	v_pk_add_f32 v[84:85], v[36:37], v[58:59] neg_lo:[0,1] neg_hi:[0,1]
	v_pk_fma_f32 v[54:55], v[90:91], s[18:19], v[16:17] op_sel:[0,0,1] op_sel_hi:[1,0,0]
	v_pk_fma_f32 v[16:17], v[90:91], s[18:19], v[16:17] op_sel:[0,0,1] op_sel_hi:[1,0,0] neg_lo:[0,0,1] neg_hi:[0,0,1]
	s_mov_b32 s2, 0x3f3d2fb0
	v_pk_mul_f32 v[68:69], v[88:89], s[26:27] op_sel_hi:[1,0]
	s_mov_b32 s40, 0xbf4c4adb
	v_pk_add_f32 v[128:129], v[130:131], v[128:129]
	v_pk_add_f32 v[130:131], v[64:65], v[132:133]
	v_mov_b32_e32 v137, v139
	v_pk_add_f32 v[82:83], v[58:59], v[36:37]
	v_pk_add_f32 v[80:81], v[38:39], v[60:61] neg_lo:[0,1] neg_hi:[0,1]
	v_mov_b32_e32 v66, v54
	v_mov_b32_e32 v67, v17
	v_pk_fma_f32 v[100:101], v[86:87], s[2:3], v[68:69] op_sel:[0,0,1] op_sel_hi:[1,0,0]
	v_pk_fma_f32 v[68:69], v[86:87], s[2:3], v[68:69] op_sel:[0,0,1] op_sel_hi:[1,0,0] neg_lo:[0,0,1] neg_hi:[0,0,1]
	s_mov_b32 s14, 0xbf1a4643
	v_pk_mul_f32 v[104:105], v[84:85], s[40:41] op_sel_hi:[1,0]
	s_mov_b32 s34, 0x3f65296c
	v_pk_add_f32 v[130:131], v[136:137], v[130:131]
	v_mov_b32_e32 v17, v55
	v_pk_add_f32 v[78:79], v[60:61], v[38:39]
	v_pk_add_f32 v[76:77], v[28:29], v[62:63] neg_lo:[0,1] neg_hi:[0,1]
	v_mov_b32_e32 v102, v100
	v_mov_b32_e32 v103, v69
	v_pk_fma_f32 v[106:107], v[82:83], s[14:15], v[104:105] op_sel:[0,0,1] op_sel_hi:[1,0,0]
	v_pk_fma_f32 v[104:105], v[82:83], s[14:15], v[104:105] op_sel:[0,0,1] op_sel_hi:[1,0,0] neg_lo:[0,0,1] neg_hi:[0,0,1]
	s_mov_b32 s24, 0x3ee437d1
	v_pk_mul_f32 v[110:111], v[80:81], s[34:35] op_sel_hi:[1,0]
	s_mov_b32 s28, 0xbf763a35
	v_pk_add_f32 v[66:67], v[66:67], v[130:131]
	v_pk_add_f32 v[16:17], v[16:17], v[128:129]
	v_mov_b32_e32 v69, v101
	v_pk_add_f32 v[74:75], v[62:63], v[28:29]
	v_pk_add_f32 v[72:73], v[30:31], v[20:21] neg_lo:[0,1] neg_hi:[0,1]
	v_mov_b32_e32 v108, v106
	v_mov_b32_e32 v109, v105
	v_pk_fma_f32 v[112:113], v[78:79], s[24:25], v[110:111] op_sel:[0,0,1] op_sel_hi:[1,0,0]
	v_pk_fma_f32 v[110:111], v[78:79], s[24:25], v[110:111] op_sel:[0,0,1] op_sel_hi:[1,0,0] neg_lo:[0,0,1] neg_hi:[0,0,1]
	s_mov_b32 s22, 0xbe8c1d8e
	v_pk_mul_f32 v[116:117], v[76:77], s[28:29] op_sel_hi:[1,0]
	s_mov_b32 s38, 0x3f7ee86f
	v_pk_add_f32 v[54:55], v[102:103], v[66:67]
	v_pk_add_f32 v[16:17], v[68:69], v[16:17]
	v_mov_b32_e32 v105, v107
	v_pk_add_f32 v[70:71], v[20:21], v[30:31]
	v_mov_b32_e32 v114, v112
	v_mov_b32_e32 v115, v111
	v_pk_fma_f32 v[118:119], v[74:75], s[22:23], v[116:117] op_sel:[0,0,1] op_sel_hi:[1,0,0]
	v_pk_fma_f32 v[116:117], v[74:75], s[22:23], v[116:117] op_sel:[0,0,1] op_sel_hi:[1,0,0] neg_lo:[0,0,1] neg_hi:[0,0,1]
	s_mov_b32 s10, 0x3dbcf732
	v_pk_mul_f32 v[122:123], v[72:73], s[38:39] op_sel_hi:[1,0]
	v_pk_add_f32 v[54:55], v[108:109], v[54:55]
	v_pk_add_f32 v[16:17], v[104:105], v[16:17]
	v_mov_b32_e32 v111, v113
	v_mov_b32_e32 v120, v118
	;; [unrolled: 1-line block ×3, first 2 shown]
	v_pk_fma_f32 v[124:125], v[70:71], s[10:11], v[122:123] op_sel:[0,0,1] op_sel_hi:[1,0,0]
	v_pk_fma_f32 v[122:123], v[70:71], s[10:11], v[122:123] op_sel:[0,0,1] op_sel_hi:[1,0,0] neg_lo:[0,0,1] neg_hi:[0,0,1]
	v_pk_add_f32 v[54:55], v[114:115], v[54:55]
	v_pk_add_f32 v[16:17], v[110:111], v[16:17]
	v_mov_b32_e32 v117, v119
	v_mov_b32_e32 v126, v124
	;; [unrolled: 1-line block ×3, first 2 shown]
	v_pk_add_f32 v[54:55], v[120:121], v[54:55]
	v_pk_add_f32 v[16:17], v[116:117], v[16:17]
	v_mov_b32_e32 v123, v125
	v_pk_add_f32 v[66:67], v[126:127], v[54:55]
	v_pk_add_f32 v[68:69], v[122:123], v[16:17]
	s_barrier
	s_and_saveexec_b64 s[16:17], vcc
	s_cbranch_execz .LBB0_17
; %bb.16:
	v_pk_add_f32 v[16:17], v[24:25], v[64:65]
	s_mov_b32 s44, 0xbeb8f4ab
	v_pk_add_f32 v[16:17], v[26:27], v[16:17]
	s_mov_b32 s42, s51
	v_pk_add_f32 v[16:17], v[32:33], v[16:17]
	v_pk_mul_f32 v[54:55], v[98:99], s[44:45] op_sel_hi:[1,0]
	v_pk_add_f32 v[16:17], v[34:35], v[16:17]
	s_mov_b32 s3, 0xbf2c7751
	v_pk_add_f32 v[16:17], v[36:37], v[16:17]
	s_mov_b32 s46, s3
	;; [unrolled: 2-line block ×4, first 2 shown]
	v_pk_add_f32 v[16:17], v[30:31], v[16:17]
	v_pk_mul_f32 v[100:101], v[94:95], s[52:53] op_sel_hi:[1,0]
	v_pk_add_f32 v[16:17], v[20:21], v[16:17]
	v_pk_fma_f32 v[20:21], v[96:97], s[42:43], v[54:55] op_sel:[0,0,1] op_sel_hi:[1,0,0]
	v_pk_add_f32 v[16:17], v[62:63], v[16:17]
	v_mov_b32_e32 v41, v21
	v_pk_add_f32 v[16:17], v[60:61], v[16:17]
	v_pk_fma_f32 v[32:33], v[90:91], s[24:25], v[100:101] op_sel:[0,0,1] op_sel_hi:[1,0,0]
	v_pk_add_f32 v[16:17], v[58:59], v[16:17]
	v_accvgpr_write_b32 a3, v33
	v_pk_add_f32 v[16:17], v[56:57], v[16:17]
	s_mov_b32 s48, s37
	v_pk_add_f32 v[16:17], v[150:151], v[16:17]
	v_accvgpr_read_b32 v24, a2
	v_pk_add_f32 v[16:17], v[148:149], v[16:17]
	v_lshl_add_u32 v40, v40, 3, v24
	v_pk_add_f32 v[102:103], v[18:19], v[16:17]
	v_pk_fma_f32 v[18:19], v[96:97], s[42:43], v[54:55] op_sel:[0,0,1] op_sel_hi:[1,0,0] neg_lo:[0,0,1] neg_hi:[0,0,1]
	s_mov_b32 s54, s3
	v_mov_b32_e32 v21, v19
	v_pk_add_f32 v[26:27], v[64:65], v[20:21]
	v_pk_mul_f32 v[20:21], v[92:93], s[46:47]
	s_mov_b32 s46, 0xbf7ee86f
	v_pk_fma_f32 v[16:17], v[22:23], s[2:3], v[20:21]
	v_pk_fma_f32 v[28:29], v[22:23], s[2:3], v[20:21] neg_lo:[1,0,0] neg_hi:[1,0,0]
	s_mov_b32 s58, 0x3f06c442
	v_mov_b32_e32 v28, v16
	v_pk_add_f32 v[30:31], v[28:29], v[26:27]
	v_pk_fma_f32 v[26:27], v[90:91], s[24:25], v[100:101] op_sel:[0,0,1] op_sel_hi:[1,0,0] neg_lo:[0,0,1] neg_hi:[0,0,1]
	s_mov_b32 s56, 0x3f763a35
	v_mov_b32_e32 v33, v27
	v_pk_add_f32 v[34:35], v[32:33], v[30:31]
	v_pk_mul_f32 v[32:33], v[88:89], s[46:47] op_sel_hi:[1,0]
	s_mov_b32 s47, s10
	v_pk_fma_f32 v[36:37], v[86:87], s[10:11], v[32:33] op_sel:[0,0,1] op_sel_hi:[1,0,0]
	v_pk_fma_f32 v[32:33], v[86:87], s[10:11], v[32:33] op_sel:[0,0,1] op_sel_hi:[1,0,0] neg_lo:[0,0,1] neg_hi:[0,0,1]
	v_accvgpr_write_b32 a7, v37
	v_mov_b32_e32 v37, v33
	v_pk_add_f32 v[38:39], v[36:37], v[34:35]
	v_pk_mul_f32 v[36:37], v[84:85], s[28:29] op_sel_hi:[1,0]
	s_mov_b32 s11, s46
	v_pk_fma_f32 v[54:55], v[82:83], s[22:23], v[36:37] op_sel:[0,0,1] op_sel_hi:[1,0,0]
	v_pk_fma_f32 v[36:37], v[82:83], s[22:23], v[36:37] op_sel:[0,0,1] op_sel_hi:[1,0,0] neg_lo:[0,0,1] neg_hi:[0,0,1]
	v_accvgpr_write_b32 a9, v55
	v_mov_b32_e32 v55, v37
	v_pk_add_f32 v[56:57], v[54:55], v[38:39]
	v_pk_mul_f32 v[54:55], v[80:81], s[40:41] op_sel_hi:[1,0]
	v_pk_mul_f32 v[106:107], v[92:93], s[46:47]
	v_pk_fma_f32 v[58:59], v[78:79], s[14:15], v[54:55] op_sel:[0,0,1] op_sel_hi:[1,0,0]
	v_pk_fma_f32 v[54:55], v[78:79], s[14:15], v[54:55] op_sel:[0,0,1] op_sel_hi:[1,0,0] neg_lo:[0,0,1] neg_hi:[0,0,1]
	v_accvgpr_write_b32 a11, v59
	v_mov_b32_e32 v59, v55
	v_pk_add_f32 v[60:61], v[58:59], v[56:57]
	v_pk_mul_f32 v[58:59], v[76:77], s[30:31] op_sel_hi:[1,0]
	v_pk_fma_f32 v[110:111], v[22:23], s[10:11], v[106:107] neg_lo:[1,0,0] neg_hi:[1,0,0]
	v_pk_fma_f32 v[56:57], v[74:75], s[18:19], v[58:59] op_sel:[0,0,1] op_sel_hi:[1,0,0]
	v_pk_fma_f32 v[58:59], v[74:75], s[18:19], v[58:59] op_sel:[0,0,1] op_sel_hi:[1,0,0] neg_lo:[0,0,1] neg_hi:[0,0,1]
	v_mov_b32_e32 v62, v56
	v_mov_b32_e32 v63, v59
	v_pk_add_f32 v[100:101], v[62:63], v[60:61]
	v_pk_mul_f32 v[62:63], v[72:73], s[36:37] op_sel_hi:[1,0]
	v_mov_b32_e32 v16, v140
	v_pk_fma_f32 v[60:61], v[70:71], s[48:49], v[62:63] op_sel:[0,0,1] op_sel_hi:[1,0,0]
	v_pk_fma_f32 v[62:63], v[70:71], s[48:49], v[62:63] op_sel:[0,0,1] op_sel_hi:[1,0,0] neg_lo:[0,0,1] neg_hi:[0,0,1]
	v_mov_b32_e32 v104, v60
	v_mov_b32_e32 v105, v63
	v_pk_add_f32 v[100:101], v[104:105], v[100:101]
	ds_write2_b64 v40, v[102:103], v[100:101] offset1:1
	v_pk_mul_f32 v[102:103], v[98:99], s[54:55] op_sel_hi:[1,0]
	v_mov_b32_e32 v19, v141
	v_pk_fma_f32 v[100:101], v[96:97], s[2:3], v[102:103] op_sel:[0,0,1] op_sel_hi:[1,0,0]
	v_pk_fma_f32 v[102:103], v[96:97], s[2:3], v[102:103] op_sel:[0,0,1] op_sel_hi:[1,0,0] neg_lo:[0,0,1] neg_hi:[0,0,1]
	v_mov_b32_e32 v104, v100
	v_mov_b32_e32 v105, v103
	v_pk_add_f32 v[108:109], v[64:65], v[104:105]
	v_pk_fma_f32 v[104:105], v[22:23], s[10:11], v[106:107]
	v_mov_b32_e32 v27, v142
	v_mov_b32_e32 v110, v104
	v_pk_add_f32 v[112:113], v[110:111], v[108:109]
	v_pk_mul_f32 v[110:111], v[94:95], s[40:41] op_sel_hi:[1,0]
	s_mov_b32 s41, s14
	v_pk_fma_f32 v[108:109], v[90:91], s[14:15], v[110:111] op_sel:[0,0,1] op_sel_hi:[1,0,0]
	v_pk_fma_f32 v[110:111], v[90:91], s[14:15], v[110:111] op_sel:[0,0,1] op_sel_hi:[1,0,0] neg_lo:[0,0,1] neg_hi:[0,0,1]
	v_mov_b32_e32 v114, v108
	v_mov_b32_e32 v115, v111
	v_pk_add_f32 v[116:117], v[114:115], v[112:113]
	v_pk_mul_f32 v[114:115], v[88:89], s[36:37] op_sel_hi:[1,0]
	s_mov_b32 s15, s40
	v_pk_fma_f32 v[112:113], v[86:87], s[48:49], v[114:115] op_sel:[0,0,1] op_sel_hi:[1,0,0]
	v_pk_fma_f32 v[114:115], v[86:87], s[48:49], v[114:115] op_sel:[0,0,1] op_sel_hi:[1,0,0] neg_lo:[0,0,1] neg_hi:[0,0,1]
	v_mov_b32_e32 v118, v112
	v_mov_b32_e32 v119, v115
	v_pk_add_f32 v[120:121], v[118:119], v[116:117]
	v_pk_mul_f32 v[118:119], v[84:85], s[58:59] op_sel_hi:[1,0]
	v_pk_mul_f32 v[138:139], v[92:93], s[40:41]
	v_pk_fma_f32 v[116:117], v[82:83], s[18:19], v[118:119] op_sel:[0,0,1] op_sel_hi:[1,0,0]
	v_pk_fma_f32 v[118:119], v[82:83], s[18:19], v[118:119] op_sel:[0,0,1] op_sel_hi:[1,0,0] neg_lo:[0,0,1] neg_hi:[0,0,1]
	v_mov_b32_e32 v122, v116
	v_mov_b32_e32 v123, v119
	v_pk_add_f32 v[124:125], v[122:123], v[120:121]
	v_pk_mul_f32 v[122:123], v[80:81], s[56:57] op_sel_hi:[1,0]
	v_mov_b32_e32 v33, v143
	v_pk_fma_f32 v[120:121], v[78:79], s[22:23], v[122:123] op_sel:[0,0,1] op_sel_hi:[1,0,0]
	v_pk_fma_f32 v[122:123], v[78:79], s[22:23], v[122:123] op_sel:[0,0,1] op_sel_hi:[1,0,0] neg_lo:[0,0,1] neg_hi:[0,0,1]
	v_mov_b32_e32 v126, v120
	v_mov_b32_e32 v127, v123
	v_pk_add_f32 v[128:129], v[126:127], v[124:125]
	v_pk_mul_f32 v[126:127], v[76:77], s[34:35] op_sel_hi:[1,0]
	v_pk_fma_f32 v[142:143], v[22:23], s[14:15], v[138:139] neg_lo:[1,0,0] neg_hi:[1,0,0]
	v_pk_fma_f32 v[124:125], v[74:75], s[24:25], v[126:127] op_sel:[0,0,1] op_sel_hi:[1,0,0]
	v_pk_fma_f32 v[126:127], v[74:75], s[24:25], v[126:127] op_sel:[0,0,1] op_sel_hi:[1,0,0] neg_lo:[0,0,1] neg_hi:[0,0,1]
	v_mov_b32_e32 v130, v124
	v_mov_b32_e32 v131, v127
	v_pk_add_f32 v[132:133], v[130:131], v[128:129]
	v_pk_mul_f32 v[130:131], v[72:73], s[50:51] op_sel_hi:[1,0]
	s_mov_b32 s60, 0x3e3c28d5
	v_pk_fma_f32 v[128:129], v[70:71], s[42:43], v[130:131] op_sel:[0,0,1] op_sel_hi:[1,0,0]
	v_pk_fma_f32 v[130:131], v[70:71], s[42:43], v[130:131] op_sel:[0,0,1] op_sel_hi:[1,0,0] neg_lo:[0,0,1] neg_hi:[0,0,1]
	v_mov_b32_e32 v134, v128
	v_mov_b32_e32 v135, v131
	v_pk_add_f32 v[164:165], v[134:135], v[132:133]
	v_pk_mul_f32 v[134:135], v[98:99], s[52:53] op_sel_hi:[1,0]
	v_accvgpr_write_b32 a1, v17
	v_pk_fma_f32 v[132:133], v[96:97], s[24:25], v[134:135] op_sel:[0,0,1] op_sel_hi:[1,0,0]
	v_pk_fma_f32 v[134:135], v[96:97], s[24:25], v[134:135] op_sel:[0,0,1] op_sel_hi:[1,0,0] neg_lo:[0,0,1] neg_hi:[0,0,1]
	v_mov_b32_e32 v136, v132
	v_mov_b32_e32 v137, v135
	v_pk_add_f32 v[140:141], v[64:65], v[136:137]
	v_pk_fma_f32 v[136:137], v[22:23], s[14:15], v[138:139]
	v_mov_b32_e32 v17, v144
	v_mov_b32_e32 v142, v136
	v_pk_add_f32 v[144:145], v[142:143], v[140:141]
	v_pk_mul_f32 v[142:143], v[94:95], s[60:61] op_sel_hi:[1,0]
	v_pk_mul_f32 v[30:31], v[92:93], s[36:37]
	v_pk_fma_f32 v[140:141], v[90:91], s[48:49], v[142:143] op_sel:[0,0,1] op_sel_hi:[1,0,0]
	v_pk_fma_f32 v[142:143], v[90:91], s[48:49], v[142:143] op_sel:[0,0,1] op_sel_hi:[1,0,0] neg_lo:[0,0,1] neg_hi:[0,0,1]
	v_mov_b32_e32 v146, v140
	v_mov_b32_e32 v147, v143
	v_pk_add_f32 v[148:149], v[146:147], v[144:145]
	v_pk_mul_f32 v[146:147], v[88:89], s[56:57] op_sel_hi:[1,0]
	v_pk_fma_f32 v[174:175], v[22:23], s[20:21], v[30:31] neg_lo:[1,0,0] neg_hi:[1,0,0]
	v_pk_fma_f32 v[144:145], v[86:87], s[22:23], v[146:147] op_sel:[0,0,1] op_sel_hi:[1,0,0]
	v_pk_fma_f32 v[146:147], v[86:87], s[22:23], v[146:147] op_sel:[0,0,1] op_sel_hi:[1,0,0] neg_lo:[0,0,1] neg_hi:[0,0,1]
	v_mov_b32_e32 v150, v144
	v_mov_b32_e32 v151, v147
	v_pk_add_f32 v[152:153], v[150:151], v[148:149]
	v_pk_mul_f32 v[150:151], v[84:85], s[26:27] op_sel_hi:[1,0]
	s_mov_b32 s59, s18
	v_pk_fma_f32 v[148:149], v[82:83], s[2:3], v[150:151] op_sel:[0,0,1] op_sel_hi:[1,0,0]
	v_pk_fma_f32 v[150:151], v[82:83], s[2:3], v[150:151] op_sel:[0,0,1] op_sel_hi:[1,0,0] neg_lo:[0,0,1] neg_hi:[0,0,1]
	v_mov_b32_e32 v154, v148
	v_mov_b32_e32 v155, v151
	v_pk_add_f32 v[156:157], v[154:155], v[152:153]
	v_pk_mul_f32 v[154:155], v[80:81], s[44:45] op_sel_hi:[1,0]
	v_pk_mul_f32 v[212:213], v[92:93], s[58:59]
	v_pk_fma_f32 v[152:153], v[78:79], s[42:43], v[154:155] op_sel:[0,0,1] op_sel_hi:[1,0,0]
	v_pk_fma_f32 v[154:155], v[78:79], s[42:43], v[154:155] op_sel:[0,0,1] op_sel_hi:[1,0,0] neg_lo:[0,0,1] neg_hi:[0,0,1]
	v_mov_b32_e32 v158, v152
	v_mov_b32_e32 v159, v155
	v_pk_add_f32 v[160:161], v[158:159], v[156:157]
	v_pk_mul_f32 v[158:159], v[76:77], s[46:47] op_sel_hi:[1,0]
	v_accvgpr_write_b32 a4, v20
	v_pk_fma_f32 v[156:157], v[74:75], s[10:11], v[158:159] op_sel:[0,0,1] op_sel_hi:[1,0,0]
	v_pk_fma_f32 v[158:159], v[74:75], s[10:11], v[158:159] op_sel:[0,0,1] op_sel_hi:[1,0,0] neg_lo:[0,0,1] neg_hi:[0,0,1]
	v_mov_b32_e32 v162, v156
	v_mov_b32_e32 v163, v159
	v_pk_add_f32 v[166:167], v[162:163], v[160:161]
	v_pk_mul_f32 v[162:163], v[72:73], s[30:31] op_sel_hi:[1,0]
	v_accvgpr_write_b32 a5, v21
	v_pk_fma_f32 v[160:161], v[70:71], s[18:19], v[162:163] op_sel:[0,0,1] op_sel_hi:[1,0,0]
	v_pk_fma_f32 v[162:163], v[70:71], s[18:19], v[162:163] op_sel:[0,0,1] op_sel_hi:[1,0,0] neg_lo:[0,0,1] neg_hi:[0,0,1]
	v_mov_b32_e32 v168, v160
	v_mov_b32_e32 v169, v163
	v_pk_add_f32 v[166:167], v[168:169], v[166:167]
	ds_write2_b64 v40, v[164:165], v[166:167] offset0:2 offset1:3
	v_pk_mul_f32 v[166:167], v[98:99], s[46:47] op_sel_hi:[1,0]
	v_mov_b32_e32 v140, v16
	v_pk_fma_f32 v[164:165], v[96:97], s[10:11], v[166:167] op_sel:[0,0,1] op_sel_hi:[1,0,0]
	v_pk_fma_f32 v[166:167], v[96:97], s[10:11], v[166:167] op_sel:[0,0,1] op_sel_hi:[1,0,0] neg_lo:[0,0,1] neg_hi:[0,0,1]
	v_mov_b32_e32 v168, v164
	v_mov_b32_e32 v169, v167
	v_pk_add_f32 v[172:173], v[64:65], v[168:169]
	v_pk_fma_f32 v[168:169], v[22:23], s[20:21], v[30:31]
	v_mov_b32_e32 v144, v17
	v_mov_b32_e32 v174, v168
	v_pk_add_f32 v[176:177], v[174:175], v[172:173]
	v_pk_mul_f32 v[174:175], v[94:95], s[56:57] op_sel_hi:[1,0]
	s_mov_b32 s57, s22
	v_pk_fma_f32 v[172:173], v[90:91], s[22:23], v[174:175] op_sel:[0,0,1] op_sel_hi:[1,0,0]
	v_pk_fma_f32 v[174:175], v[90:91], s[22:23], v[174:175] op_sel:[0,0,1] op_sel_hi:[1,0,0] neg_lo:[0,0,1] neg_hi:[0,0,1]
	v_mov_b32_e32 v178, v172
	v_mov_b32_e32 v179, v175
	v_pk_add_f32 v[180:181], v[178:179], v[176:177]
	v_pk_mul_f32 v[178:179], v[88:89], s[50:51] op_sel_hi:[1,0]
	s_mov_b32 s50, 0x3f4c4adb
	v_pk_fma_f32 v[176:177], v[86:87], s[42:43], v[178:179] op_sel:[0,0,1] op_sel_hi:[1,0,0]
	v_pk_fma_f32 v[178:179], v[86:87], s[42:43], v[178:179] op_sel:[0,0,1] op_sel_hi:[1,0,0] neg_lo:[0,0,1] neg_hi:[0,0,1]
	v_mov_b32_e32 v182, v176
	v_mov_b32_e32 v183, v179
	v_pk_add_f32 v[184:185], v[182:183], v[180:181]
	v_pk_mul_f32 v[182:183], v[84:85], s[52:53] op_sel_hi:[1,0]
	v_pk_mul_f32 v[242:243], v[92:93], s[56:57]
	v_pk_fma_f32 v[180:181], v[82:83], s[24:25], v[182:183] op_sel:[0,0,1] op_sel_hi:[1,0,0]
	v_pk_fma_f32 v[182:183], v[82:83], s[24:25], v[182:183] op_sel:[0,0,1] op_sel_hi:[1,0,0] neg_lo:[0,0,1] neg_hi:[0,0,1]
	v_mov_b32_e32 v186, v180
	v_mov_b32_e32 v187, v183
	v_pk_add_f32 v[188:189], v[186:187], v[184:185]
	v_pk_mul_f32 v[186:187], v[80:81], s[30:31] op_sel_hi:[1,0]
	v_mov_b32_e32 v167, v165
	v_pk_fma_f32 v[184:185], v[78:79], s[18:19], v[186:187] op_sel:[0,0,1] op_sel_hi:[1,0,0]
	v_pk_fma_f32 v[186:187], v[78:79], s[18:19], v[186:187] op_sel:[0,0,1] op_sel_hi:[1,0,0] neg_lo:[0,0,1] neg_hi:[0,0,1]
	v_mov_b32_e32 v190, v184
	v_mov_b32_e32 v191, v187
	v_pk_add_f32 v[192:193], v[190:191], v[188:189]
	v_pk_mul_f32 v[190:191], v[76:77], s[50:51] op_sel_hi:[1,0]
	s_mov_b32 s19, s58
	v_pk_fma_f32 v[188:189], v[74:75], s[14:15], v[190:191] op_sel:[0,0,1] op_sel_hi:[1,0,0]
	v_pk_fma_f32 v[190:191], v[74:75], s[14:15], v[190:191] op_sel:[0,0,1] op_sel_hi:[1,0,0] neg_lo:[0,0,1] neg_hi:[0,0,1]
	v_mov_b32_e32 v194, v188
	v_mov_b32_e32 v195, v191
	v_pk_add_f32 v[204:205], v[194:195], v[192:193]
	v_pk_mul_f32 v[194:195], v[72:73], s[26:27] op_sel_hi:[1,0]
	v_pk_fma_f32 v[34:35], v[22:23], s[18:19], v[212:213]
	v_pk_fma_f32 v[192:193], v[70:71], s[2:3], v[194:195] op_sel:[0,0,1] op_sel_hi:[1,0,0]
	v_pk_fma_f32 v[194:195], v[70:71], s[2:3], v[194:195] op_sel:[0,0,1] op_sel_hi:[1,0,0] neg_lo:[0,0,1] neg_hi:[0,0,1]
	v_mov_b32_e32 v206, v192
	v_mov_b32_e32 v207, v195
	v_pk_add_f32 v[204:205], v[206:207], v[204:205]
	v_pk_mul_f32 v[206:207], v[98:99], s[28:29] op_sel_hi:[1,0]
	v_pk_fma_f32 v[216:217], v[22:23], s[18:19], v[212:213] neg_lo:[1,0,0] neg_hi:[1,0,0]
	v_pk_fma_f32 v[38:39], v[96:97], s[22:23], v[206:207] op_sel:[0,0,1] op_sel_hi:[1,0,0]
	v_pk_fma_f32 v[206:207], v[96:97], s[22:23], v[206:207] op_sel:[0,0,1] op_sel_hi:[1,0,0] neg_lo:[0,0,1] neg_hi:[0,0,1]
	v_mov_b32_e32 v210, v38
	v_mov_b32_e32 v211, v207
	v_pk_add_f32 v[210:211], v[64:65], v[210:211]
	v_mov_b32_e32 v216, v34
	v_pk_add_f32 v[210:211], v[216:217], v[210:211]
	v_pk_mul_f32 v[216:217], v[94:95], s[26:27] op_sel_hi:[1,0]
	s_mov_b32 s23, s56
	v_pk_fma_f32 v[28:29], v[90:91], s[2:3], v[216:217] op_sel:[0,0,1] op_sel_hi:[1,0,0]
	v_pk_fma_f32 v[216:217], v[90:91], s[2:3], v[216:217] op_sel:[0,0,1] op_sel_hi:[1,0,0] neg_lo:[0,0,1] neg_hi:[0,0,1]
	v_mov_b32_e32 v220, v28
	v_mov_b32_e32 v221, v217
	v_pk_add_f32 v[210:211], v[220:221], v[210:211]
	v_pk_mul_f32 v[220:221], v[88:89], s[52:53] op_sel_hi:[1,0]
	v_pk_fma_f32 v[244:245], v[22:23], s[22:23], v[242:243]
	v_pk_fma_f32 v[24:25], v[86:87], s[24:25], v[220:221] op_sel:[0,0,1] op_sel_hi:[1,0,0]
	v_pk_fma_f32 v[220:221], v[86:87], s[24:25], v[220:221] op_sel:[0,0,1] op_sel_hi:[1,0,0] neg_lo:[0,0,1] neg_hi:[0,0,1]
	v_mov_b32_e32 v224, v24
	v_mov_b32_e32 v225, v221
	v_pk_add_f32 v[210:211], v[224:225], v[210:211]
	v_pk_mul_f32 v[224:225], v[84:85], s[36:37] op_sel_hi:[1,0]
	v_pk_fma_f32 v[246:247], v[22:23], s[22:23], v[242:243] neg_lo:[1,0,0] neg_hi:[1,0,0]
	v_pk_fma_f32 v[20:21], v[82:83], s[48:49], v[224:225] op_sel:[0,0,1] op_sel_hi:[1,0,0]
	v_pk_fma_f32 v[224:225], v[82:83], s[48:49], v[224:225] op_sel:[0,0,1] op_sel_hi:[1,0,0] neg_lo:[0,0,1] neg_hi:[0,0,1]
	v_mov_b32_e32 v228, v20
	v_mov_b32_e32 v229, v225
	v_pk_add_f32 v[210:211], v[228:229], v[210:211]
	v_pk_mul_f32 v[228:229], v[80:81], s[38:39] op_sel_hi:[1,0]
	v_mov_b32_e32 v246, v244
	v_pk_fma_f32 v[230:231], v[78:79], s[10:11], v[228:229] op_sel:[0,0,1] op_sel_hi:[1,0,0]
	v_pk_fma_f32 v[228:229], v[78:79], s[10:11], v[228:229] op_sel:[0,0,1] op_sel_hi:[1,0,0] neg_lo:[0,0,1] neg_hi:[0,0,1]
	v_mov_b32_e32 v232, v230
	v_mov_b32_e32 v233, v229
	v_pk_add_f32 v[210:211], v[232:233], v[210:211]
	v_pk_mul_f32 v[232:233], v[76:77], s[44:45] op_sel_hi:[1,0]
	v_mov_b32_e32 v207, v39
	v_pk_fma_f32 v[234:235], v[74:75], s[42:43], v[232:233] op_sel:[0,0,1] op_sel_hi:[1,0,0]
	v_pk_fma_f32 v[232:233], v[74:75], s[42:43], v[232:233] op_sel:[0,0,1] op_sel_hi:[1,0,0] neg_lo:[0,0,1] neg_hi:[0,0,1]
	v_mov_b32_e32 v236, v234
	v_mov_b32_e32 v237, v233
	v_pk_add_f32 v[210:211], v[236:237], v[210:211]
	v_pk_mul_f32 v[236:237], v[72:73], s[40:41] op_sel_hi:[1,0]
	v_pk_fma_f32 v[38:39], v[22:23], s[18:19], v[212:213] neg_lo:[0,0,1] neg_hi:[0,0,1]
	v_pk_fma_f32 v[238:239], v[70:71], s[14:15], v[236:237] op_sel:[0,0,1] op_sel_hi:[1,0,0]
	v_pk_fma_f32 v[236:237], v[70:71], s[14:15], v[236:237] op_sel:[0,0,1] op_sel_hi:[1,0,0] neg_lo:[0,0,1] neg_hi:[0,0,1]
	v_mov_b32_e32 v240, v238
	v_mov_b32_e32 v241, v237
	v_pk_add_f32 v[210:211], v[240:241], v[210:211]
	ds_write2_b64 v40, v[204:205], v[210:211] offset0:4 offset1:5
	v_pk_mul_f32 v[204:205], v[98:99], s[40:41] op_sel_hi:[1,0]
	v_pk_mul_f32 v[98:99], v[98:99], s[30:31] op_sel_hi:[1,0]
	v_pk_fma_f32 v[210:211], v[96:97], s[14:15], v[204:205] op_sel:[0,0,1] op_sel_hi:[1,0,0]
	v_pk_fma_f32 v[204:205], v[96:97], s[14:15], v[204:205] op_sel:[0,0,1] op_sel_hi:[1,0,0] neg_lo:[0,0,1] neg_hi:[0,0,1]
	v_mov_b32_e32 v240, v210
	v_mov_b32_e32 v241, v205
	v_pk_add_f32 v[240:241], v[64:65], v[240:241]
	v_mov_b32_e32 v205, v211
	v_pk_add_f32 v[240:241], v[246:247], v[240:241]
	v_pk_mul_f32 v[246:247], v[94:95], s[44:45] op_sel_hi:[1,0]
	v_pk_mul_f32 v[94:95], v[94:95], s[46:47] op_sel_hi:[1,0]
	v_pk_fma_f32 v[248:249], v[90:91], s[42:43], v[246:247] op_sel:[0,0,1] op_sel_hi:[1,0,0]
	v_pk_fma_f32 v[246:247], v[90:91], s[42:43], v[246:247] op_sel:[0,0,1] op_sel_hi:[1,0,0] neg_lo:[0,0,1] neg_hi:[0,0,1]
	v_mov_b32_e32 v250, v248
	v_mov_b32_e32 v251, v247
	v_pk_add_f32 v[240:241], v[250:251], v[240:241]
	v_pk_mul_f32 v[250:251], v[88:89], s[30:31] op_sel_hi:[1,0]
	v_pk_mul_f32 v[88:89], v[88:89], s[50:51] op_sel_hi:[1,0]
	v_pk_fma_f32 v[252:253], v[86:87], s[18:19], v[250:251] op_sel:[0,0,1] op_sel_hi:[1,0,0]
	v_pk_fma_f32 v[250:251], v[86:87], s[18:19], v[250:251] op_sel:[0,0,1] op_sel_hi:[1,0,0] neg_lo:[0,0,1] neg_hi:[0,0,1]
	v_mov_b32_e32 v254, v252
	;; [unrolled: 7-line block ×5, first 2 shown]
	v_mov_b32_e32 v45, v203
	v_pk_add_f32 v[44:45], v[44:45], v[198:199]
	v_pk_mul_f32 v[198:199], v[72:73], s[34:35] op_sel_hi:[1,0]
	s_mov_b32 s35, s24
	v_pk_fma_f32 v[170:171], v[70:71], s[24:25], v[198:199] op_sel:[0,0,1] op_sel_hi:[1,0,0]
	v_pk_fma_f32 v[198:199], v[70:71], s[24:25], v[198:199] op_sel:[0,0,1] op_sel_hi:[1,0,0] neg_lo:[0,0,1] neg_hi:[0,0,1]
	v_mov_b32_e32 v214, v170
	v_mov_b32_e32 v215, v199
	v_pk_add_f32 v[44:45], v[214:215], v[44:45]
	v_pk_fma_f32 v[214:215], v[96:97], s[18:19], v[98:99] op_sel:[0,0,1] op_sel_hi:[1,0,0]
	v_pk_fma_f32 v[96:97], v[96:97], s[18:19], v[98:99] op_sel:[0,0,1] op_sel_hi:[1,0,0] neg_lo:[0,0,1] neg_hi:[0,0,1]
	s_mov_b32 s25, s34
	v_pk_mul_f32 v[92:93], v[92:93], s[34:35]
	v_mov_b32_e32 v98, v214
	v_mov_b32_e32 v99, v97
	v_pk_fma_f32 v[222:223], v[22:23], s[24:25], v[92:93]
	v_pk_fma_f32 v[218:219], v[22:23], s[24:25], v[92:93] neg_lo:[1,0,0] neg_hi:[1,0,0]
	v_pk_add_f32 v[98:99], v[64:65], v[98:99]
	v_mov_b32_e32 v218, v222
	v_pk_add_f32 v[98:99], v[218:219], v[98:99]
	v_pk_fma_f32 v[218:219], v[90:91], s[10:11], v[94:95] op_sel:[0,0,1] op_sel_hi:[1,0,0]
	v_pk_fma_f32 v[90:91], v[90:91], s[10:11], v[94:95] op_sel:[0,0,1] op_sel_hi:[1,0,0] neg_lo:[0,0,1] neg_hi:[0,0,1]
	v_mov_b32_e32 v94, v218
	v_mov_b32_e32 v95, v91
	v_pk_add_f32 v[94:95], v[94:95], v[98:99]
	v_pk_fma_f32 v[98:99], v[86:87], s[14:15], v[88:89] op_sel:[0,0,1] op_sel_hi:[1,0,0]
	v_pk_fma_f32 v[86:87], v[86:87], s[14:15], v[88:89] op_sel:[0,0,1] op_sel_hi:[1,0,0] neg_lo:[0,0,1] neg_hi:[0,0,1]
	v_mov_b32_e32 v88, v98
	;; [unrolled: 5-line block ×5, first 2 shown]
	v_mov_b32_e32 v77, v75
	v_pk_mul_f32 v[72:73], v[72:73], s[28:29] op_sel_hi:[1,0]
	v_pk_add_f32 v[76:77], v[76:77], v[80:81]
	v_pk_fma_f32 v[80:81], v[70:71], s[22:23], v[72:73] op_sel:[0,0,1] op_sel_hi:[1,0,0]
	v_pk_fma_f32 v[70:71], v[70:71], s[22:23], v[72:73] op_sel:[0,0,1] op_sel_hi:[1,0,0] neg_lo:[0,0,1] neg_hi:[0,0,1]
	v_mov_b32_e32 v72, v80
	v_mov_b32_e32 v73, v71
	v_pk_add_f32 v[72:73], v[72:73], v[76:77]
	ds_write2_b64 v40, v[44:45], v[72:73] offset0:6 offset1:7
	ds_write2_b64 v40, v[66:67], v[68:69] offset0:8 offset1:9
	v_mov_b32_e32 v97, v215
	v_pk_fma_f32 v[72:73], v[22:23], s[24:25], v[92:93] neg_lo:[0,0,1] neg_hi:[0,0,1]
	v_pk_add_f32 v[44:45], v[64:65], v[96:97]
	v_mov_b32_e32 v73, v223
	v_pk_add_f32 v[44:45], v[72:73], v[44:45]
	v_mov_b32_e32 v91, v219
	;; [unrolled: 2-line block ×7, first 2 shown]
	v_pk_fma_f32 v[72:73], v[22:23], s[22:23], v[242:243] neg_lo:[0,0,1] neg_hi:[0,0,1]
	v_pk_add_f32 v[44:45], v[70:71], v[44:45]
	v_pk_add_f32 v[70:71], v[64:65], v[204:205]
	v_mov_b32_e32 v73, v245
	v_pk_add_f32 v[70:71], v[72:73], v[70:71]
	v_mov_b32_e32 v247, v249
	;; [unrolled: 2-line block ×8, first 2 shown]
	v_pk_fma_f32 v[24:25], v[22:23], s[20:21], v[30:31] neg_lo:[0,0,1] neg_hi:[0,0,1]
	ds_write2_b64 v40, v[44:45], v[16:17] offset0:10 offset1:11
	v_pk_add_f32 v[16:17], v[64:65], v[206:207]
	v_mov_b32_e32 v39, v35
	v_mov_b32_e32 v225, v21
	v_pk_add_f32 v[20:21], v[64:65], v[166:167]
	v_mov_b32_e32 v25, v169
	v_pk_add_f32 v[16:17], v[38:39], v[16:17]
	;; [unrolled: 2-line block ×4, first 2 shown]
	v_pk_add_f32 v[20:21], v[174:175], v[20:21]
	v_mov_b32_e32 v179, v177
	v_pk_add_f32 v[16:17], v[220:221], v[16:17]
	v_pk_add_f32 v[20:21], v[178:179], v[20:21]
	v_mov_b32_e32 v183, v181
	v_pk_add_f32 v[16:17], v[224:225], v[16:17]
	v_mov_b32_e32 v229, v231
	;; [unrolled: 2-line block ×7, first 2 shown]
	v_pk_add_f32 v[16:17], v[236:237], v[16:17]
	v_pk_add_f32 v[20:21], v[194:195], v[20:21]
	ds_write2_b64 v40, v[16:17], v[20:21] offset0:12 offset1:13
	v_mov_b32_e32 v135, v133
	v_pk_fma_f32 v[20:21], v[22:23], s[14:15], v[138:139] neg_lo:[0,0,1] neg_hi:[0,0,1]
	v_pk_add_f32 v[16:17], v[64:65], v[134:135]
	v_mov_b32_e32 v21, v137
	v_mov_b32_e32 v103, v101
	v_pk_fma_f32 v[24:25], v[22:23], s[10:11], v[106:107] neg_lo:[0,0,1] neg_hi:[0,0,1]
	v_pk_add_f32 v[16:17], v[20:21], v[16:17]
	v_pk_add_f32 v[20:21], v[64:65], v[102:103]
	v_mov_b32_e32 v25, v105
	v_mov_b32_e32 v143, v141
	v_pk_add_f32 v[20:21], v[24:25], v[20:21]
	v_mov_b32_e32 v111, v109
	v_pk_add_f32 v[16:17], v[142:143], v[16:17]
	;; [unrolled: 2-line block ×11, first 2 shown]
	v_mov_b32_e32 v131, v129
	v_mov_b32_e32 v141, v19
	v_pk_add_f32 v[16:17], v[162:163], v[16:17]
	v_pk_add_f32 v[20:21], v[130:131], v[20:21]
	v_mov_b32_e32 v19, v41
	ds_write2_b64 v40, v[16:17], v[20:21] offset0:14 offset1:15
	v_pk_add_f32 v[16:17], v[64:65], v[18:19]
	v_accvgpr_read_b32 v19, a5
	v_accvgpr_read_b32 v18, a4
	v_pk_fma_f32 v[18:19], v[22:23], s[2:3], v[18:19] neg_lo:[0,0,1] neg_hi:[0,0,1]
	v_mov_b32_e32 v142, v27
	v_accvgpr_read_b32 v19, a1
	v_accvgpr_read_b32 v27, a3
	v_pk_add_f32 v[16:17], v[18:19], v[16:17]
	v_mov_b32_e32 v143, v33
	v_pk_add_f32 v[16:17], v[26:27], v[16:17]
	v_accvgpr_read_b32 v33, a7
	v_pk_add_f32 v[16:17], v[32:33], v[16:17]
	v_accvgpr_read_b32 v37, a9
	;; [unrolled: 2-line block ×3, first 2 shown]
	v_pk_add_f32 v[16:17], v[54:55], v[16:17]
	v_mov_b32_e32 v59, v57
	v_pk_add_f32 v[16:17], v[58:59], v[16:17]
	v_mov_b32_e32 v63, v61
	v_accvgpr_read_b32 v146, a0
	v_pk_add_f32 v[16:17], v[62:63], v[16:17]
	ds_write_b64 v40, v[16:17] offset:128
.LBB0_17:
	s_or_b64 exec, exec, s[16:17]
	s_waitcnt lgkmcnt(0)
	s_barrier
	ds_read2_b64 v[24:27], v197 offset1:34
	ds_read2_b64 v[28:31], v197 offset0:153 offset1:187
	ds_read2_b64 v[16:19], v197 offset0:68 offset1:102
	;; [unrolled: 1-line block ×3, first 2 shown]
	v_mov_b32_e32 v64, v52
	v_mov_b32_e32 v65, v52
	;; [unrolled: 1-line block ×12, first 2 shown]
	s_and_saveexec_b64 s[2:3], s[0:1]
	s_cbranch_execz .LBB0_19
; %bb.18:
	ds_read_b64 v[66:67], v197 offset:1088
	ds_read_b64 v[68:69], v197 offset:2312
.LBB0_19:
	s_or_b64 exec, exec, s[2:3]
	s_waitcnt lgkmcnt(2)
	v_pk_mul_f32 v[44:45], v[52:53], v[28:29]
	v_pk_mul_f32 v[50:51], v[50:51], v[30:31]
	v_pk_fma_f32 v[52:53], v[64:65], v[28:29], v[44:45] op_sel:[0,0,1] op_sel_hi:[1,1,0]
	v_pk_fma_f32 v[28:29], v[64:65], v[28:29], v[44:45] op_sel:[0,0,1] op_sel_hi:[1,1,0] neg_lo:[0,0,1] neg_hi:[0,0,1]
	s_waitcnt lgkmcnt(0)
	v_mov_b32_e32 v53, v29
	v_pk_add_f32 v[28:29], v[24:25], v[52:53] neg_lo:[0,1] neg_hi:[0,1]
	s_barrier
	v_pk_fma_f32 v[24:25], v[24:25], 2.0, v[28:29] op_sel_hi:[1,0,1] neg_lo:[0,0,1] neg_hi:[0,0,1]
	ds_write2_b64 v143, v[24:25], v[28:29] offset1:17
	v_pk_fma_f32 v[24:25], v[62:63], v[30:31], v[50:51] op_sel:[0,0,1] op_sel_hi:[1,1,0]
	v_pk_fma_f32 v[28:29], v[62:63], v[30:31], v[50:51] op_sel:[0,0,1] op_sel_hi:[1,1,0] neg_lo:[0,0,1] neg_hi:[0,0,1]
	v_pk_mul_f32 v[48:49], v[48:49], v[20:21]
	v_mov_b32_e32 v25, v29
	v_pk_add_f32 v[24:25], v[26:27], v[24:25] neg_lo:[0,1] neg_hi:[0,1]
	v_pk_mul_f32 v[46:47], v[46:47], v[22:23]
	v_pk_fma_f32 v[26:27], v[26:27], 2.0, v[24:25] op_sel_hi:[1,0,1] neg_lo:[0,0,1] neg_hi:[0,0,1]
	ds_write2_b64 v144, v[26:27], v[24:25] offset1:17
	v_pk_fma_f32 v[24:25], v[60:61], v[20:21], v[48:49] op_sel:[0,0,1] op_sel_hi:[1,1,0]
	v_pk_fma_f32 v[20:21], v[60:61], v[20:21], v[48:49] op_sel:[0,0,1] op_sel_hi:[1,1,0] neg_lo:[0,0,1] neg_hi:[0,0,1]
	v_mov_b32_e32 v58, v12
	v_mov_b32_e32 v25, v21
	v_pk_add_f32 v[20:21], v[16:17], v[24:25] neg_lo:[0,1] neg_hi:[0,1]
	v_mov_b32_e32 v59, v12
	v_pk_fma_f32 v[16:17], v[16:17], 2.0, v[20:21] op_sel_hi:[1,0,1] neg_lo:[0,0,1] neg_hi:[0,0,1]
	ds_write2_b64 v142, v[16:17], v[20:21] offset1:17
	v_pk_fma_f32 v[16:17], v[70:71], v[22:23], v[46:47] op_sel:[0,0,1] op_sel_hi:[1,1,0]
	v_pk_fma_f32 v[20:21], v[70:71], v[22:23], v[46:47] op_sel:[0,0,1] op_sel_hi:[1,1,0] neg_lo:[0,0,1] neg_hi:[0,0,1]
	v_mov_b32_e32 v12, v13
	v_mov_b32_e32 v17, v21
	v_pk_add_f32 v[16:17], v[18:19], v[16:17] neg_lo:[0,1] neg_hi:[0,1]
	v_mov_b32_e32 v56, v14
	v_mov_b32_e32 v57, v14
	;; [unrolled: 1-line block ×21, first 2 shown]
	v_pk_fma_f32 v[18:19], v[18:19], 2.0, v[16:17] op_sel_hi:[1,0,1] neg_lo:[0,0,1] neg_hi:[0,0,1]
	ds_write2_b64 v141, v[18:19], v[16:17] offset1:17
	s_and_saveexec_b64 s[2:3], s[0:1]
	s_cbranch_execz .LBB0_21
; %bb.20:
	v_pk_mul_f32 v[16:17], v[226:227], v[68:69] op_sel:[0,1]
	v_and_b32_e32 v18, 0xff, v140
	v_accvgpr_read_b32 v19, a2
	v_lshl_add_u32 v20, v18, 3, v19
	v_pk_fma_f32 v[18:19], v[226:227], v[68:69], v[16:17] op_sel:[0,0,1] op_sel_hi:[1,1,0]
	v_pk_fma_f32 v[16:17], v[226:227], v[68:69], v[16:17] op_sel:[0,0,1] op_sel_hi:[1,0,0] neg_lo:[1,0,0] neg_hi:[1,0,0]
	v_add_u32_e32 v20, 0x800, v20
	v_mov_b32_e32 v19, v17
	v_pk_add_f32 v[16:17], v[66:67], v[18:19] neg_lo:[0,1] neg_hi:[0,1]
	s_nop 0
	v_pk_fma_f32 v[18:19], v[66:67], 2.0, v[16:17] op_sel_hi:[1,0,1] neg_lo:[0,0,1] neg_hi:[0,0,1]
	ds_write2_b64 v20, v[18:19], v[16:17] offset0:16 offset1:33
.LBB0_21:
	s_or_b64 exec, exec, s[2:3]
	s_waitcnt lgkmcnt(0)
	s_barrier
	ds_read2_b64 v[16:19], v197 offset1:34
	ds_read2_b64 v[20:23], v197 offset0:68 offset1:102
	ds_read2_b64 v[24:27], v197 offset0:136 offset1:170
	;; [unrolled: 1-line block ×3, first 2 shown]
	ds_read_b64 v[44:45], v197 offset:2176
	s_waitcnt lgkmcnt(4)
	v_pk_mul_f32 v[12:13], v[12:13], v[18:19]
	s_waitcnt lgkmcnt(3)
	v_pk_mul_f32 v[14:15], v[14:15], v[20:21]
	v_pk_mul_f32 v[8:9], v[8:9], v[22:23]
	v_pk_fma_f32 v[46:47], v[58:59], v[18:19], v[12:13] op_sel:[0,0,1] op_sel_hi:[1,1,0]
	v_pk_fma_f32 v[12:13], v[58:59], v[18:19], v[12:13] op_sel:[0,0,1] op_sel_hi:[1,1,0] neg_lo:[0,0,1] neg_hi:[0,0,1]
	v_pk_fma_f32 v[18:19], v[56:57], v[20:21], v[14:15] op_sel:[0,0,1] op_sel_hi:[1,1,0]
	v_pk_fma_f32 v[14:15], v[56:57], v[20:21], v[14:15] op_sel:[0,0,1] op_sel_hi:[1,1,0] neg_lo:[0,0,1] neg_hi:[0,0,1]
	;; [unrolled: 2-line block ×3, first 2 shown]
	s_waitcnt lgkmcnt(2)
	v_pk_mul_f32 v[4:5], v[4:5], v[26:27]
	v_mov_b32_e32 v21, v9
	v_pk_mul_f32 v[8:9], v[10:11], v[24:25]
	s_waitcnt lgkmcnt(1)
	v_pk_mul_f32 v[0:1], v[0:1], v[30:31]
	v_pk_fma_f32 v[10:11], v[40:41], v[24:25], v[8:9] op_sel:[0,0,1] op_sel_hi:[1,1,0]
	v_pk_fma_f32 v[8:9], v[40:41], v[24:25], v[8:9] op_sel:[0,0,1] op_sel_hi:[1,1,0] neg_lo:[0,0,1] neg_hi:[0,0,1]
	s_waitcnt lgkmcnt(0)
	v_pk_mul_f32 v[2:3], v[2:3], v[44:45]
	v_mov_b32_e32 v11, v9
	v_pk_fma_f32 v[8:9], v[38:39], v[26:27], v[4:5] op_sel:[0,0,1] op_sel_hi:[1,1,0]
	v_pk_fma_f32 v[4:5], v[38:39], v[26:27], v[4:5] op_sel:[0,0,1] op_sel_hi:[1,1,0] neg_lo:[0,0,1] neg_hi:[0,0,1]
	v_mov_b32_e32 v19, v15
	v_mov_b32_e32 v9, v5
	v_pk_mul_f32 v[4:5], v[6:7], v[28:29]
	v_pk_fma_f32 v[22:23], v[32:33], v[44:45], v[2:3] op_sel:[0,0,1] op_sel_hi:[1,1,0]
	v_pk_fma_f32 v[6:7], v[36:37], v[28:29], v[4:5] op_sel:[0,0,1] op_sel_hi:[1,1,0]
	v_pk_fma_f32 v[4:5], v[36:37], v[28:29], v[4:5] op_sel:[0,0,1] op_sel_hi:[1,1,0] neg_lo:[0,0,1] neg_hi:[0,0,1]
	v_pk_fma_f32 v[2:3], v[32:33], v[44:45], v[2:3] op_sel:[0,0,1] op_sel_hi:[1,1,0] neg_lo:[0,0,1] neg_hi:[0,0,1]
	v_mov_b32_e32 v7, v5
	v_pk_fma_f32 v[4:5], v[34:35], v[30:31], v[0:1] op_sel:[0,0,1] op_sel_hi:[1,1,0]
	v_pk_fma_f32 v[0:1], v[34:35], v[30:31], v[0:1] op_sel:[0,0,1] op_sel_hi:[1,1,0] neg_lo:[0,0,1] neg_hi:[0,0,1]
	s_mov_b32 s2, 0x3f248dbb
	v_mov_b32_e32 v5, v1
	v_mov_b32_e32 v23, v3
	v_pk_add_f32 v[26:27], v[18:19], v[4:5]
	v_mov_b32_e32 v2, v3
	v_mov_b32_e32 v3, v4
	;; [unrolled: 1-line block ×6, first 2 shown]
	s_mov_b32 s3, 0x3f7c1c5c
	v_mov_b32_e32 v47, v13
	v_mov_b32_e32 v12, v13
	;; [unrolled: 1-line block ×3, first 2 shown]
	v_pk_add_f32 v[0:1], v[4:5], v[0:1] neg_lo:[0,1] neg_hi:[0,1]
	s_mov_b32 s10, s3
	s_mov_b32 s11, s2
	v_pk_add_f32 v[28:29], v[20:21], v[6:7]
	v_pk_add_f32 v[2:3], v[12:13], v[2:3] neg_lo:[0,1] neg_hi:[0,1]
	v_pk_add_f32 v[4:5], v[20:21], v[6:7] neg_lo:[0,1] neg_hi:[0,1]
	s_mov_b32 s0, 0x3f5db3d7
	v_pk_mul_f32 v[6:7], v[0:1], s[10:11]
	v_pk_add_f32 v[24:25], v[46:47], v[22:23]
	v_pk_mul_f32 v[4:5], v[4:5], s[0:1] op_sel_hi:[1,0]
	v_pk_fma_f32 v[6:7], v[2:3], s[2:3], v[6:7]
	v_pk_add_f32 v[12:13], v[10:11], v[8:9] neg_lo:[0,1] neg_hi:[0,1]
	s_mov_b32 s10, 0x3eaf1d44
	v_pk_add_f32 v[30:31], v[26:27], v[24:25]
	v_pk_add_f32 v[6:7], v[4:5], v[6:7] op_sel:[1,0] op_sel_hi:[0,1]
	v_pk_mul_f32 v[14:15], v[12:13], s[10:11] op_sel_hi:[1,0]
	s_mov_b32 s14, 0x3f441b7d
	v_pk_add_f32 v[32:33], v[28:29], v[30:31]
	v_pk_add_f32 v[6:7], v[14:15], v[6:7] op_sel:[1,0] op_sel_hi:[0,1]
	v_pk_fma_f32 v[14:15], v[24:25], s[14:15], v[16:17] op_sel_hi:[1,0,1]
	s_mov_b32 s16, 0x3e31d0d4
	v_pk_add_f32 v[32:33], v[10:11], v[32:33]
	v_pk_fma_f32 v[14:15], v[26:27], s[16:17], v[14:15] op_sel_hi:[1,0,1]
	v_pk_add_f32 v[32:33], v[8:9], v[32:33]
	v_pk_fma_f32 v[14:15], v[28:29], 0.5, v[14:15] op_sel_hi:[1,0,1] neg_lo:[1,0,0] neg_hi:[1,0,0]
	v_pk_add_f32 v[8:9], v[10:11], v[8:9]
	s_mov_b32 s18, 0x3f708fb2
	v_pk_fma_f32 v[10:11], v[8:9], s[18:19], v[14:15] op_sel_hi:[1,0,1] neg_lo:[1,0,0] neg_hi:[1,0,0]
	v_mov_b32_e32 v18, v2
	v_pk_add_f32 v[14:15], v[10:11], v[6:7] neg_lo:[0,1] neg_hi:[0,1]
	v_pk_add_f32 v[10:11], v[10:11], v[6:7]
	v_mov_b32_e32 v19, v1
	v_fma_f32 v10, 2.0, v6, v14
	v_mov_b32_e32 v15, v11
	v_fmac_f32_e32 v11, -2.0, v7
	v_pk_mul_f32 v[6:7], v[12:13], s[2:3] op_sel_hi:[1,0]
	s_mov_b32 s2, s3
	v_pk_fma_f32 v[22:23], v[8:9], s[14:15], v[16:17] op_sel_hi:[1,0,1]
	v_pk_fma_f32 v[6:7], v[18:19], s[2:3], v[6:7] op_sel:[0,0,1] op_sel_hi:[1,0,0] neg_lo:[0,0,1] neg_hi:[0,0,1]
	v_pk_fma_f32 v[22:23], v[24:25], s[16:17], v[22:23] op_sel_hi:[1,0,1]
	v_pk_add_f32 v[6:7], v[6:7], v[4:5] op_sel:[0,1] op_sel_hi:[1,0] neg_lo:[0,1] neg_hi:[0,1]
	v_mov_b32_e32 v20, v0
	v_mov_b32_e32 v21, v3
	v_pk_fma_f32 v[22:23], v[28:29], 0.5, v[22:23] op_sel_hi:[1,0,1] neg_lo:[1,0,0] neg_hi:[1,0,0]
	v_pk_add_f32 v[32:33], v[32:33], v[16:17]
	v_pk_fma_f32 v[6:7], v[20:21], s[10:11], v[6:7] op_sel_hi:[1,0,1]
	v_pk_fma_f32 v[22:23], v[26:27], s[18:19], v[22:23] op_sel_hi:[1,0,1] neg_lo:[1,0,0] neg_hi:[1,0,0]
	ds_write_b64 v196, v[32:33]
	v_pk_add_f32 v[32:33], v[22:23], v[6:7] neg_lo:[0,1] neg_hi:[0,1]
	v_pk_add_f32 v[22:23], v[22:23], v[6:7]
	s_nop 0
	v_mov_b32_e32 v33, v23
	ds_write2_b64 v196, v[14:15], v[32:33] offset0:34 offset1:68
	v_mov_b32_e32 v14, v1
	v_mov_b32_e32 v15, v2
	v_pk_add_f32 v[14:15], v[12:13], v[14:15]
	v_mov_b32_e32 v2, v3
	v_mov_b32_e32 v3, v0
	v_fma_f32 v22, 2.0, v6, v32
	v_fmac_f32_e32 v23, -2.0, v7
	v_pk_add_f32 v[6:7], v[28:29], v[16:17]
	v_pk_add_f32 v[0:1], v[14:15], v[2:3] neg_lo:[0,1] neg_hi:[0,1]
	v_pk_add_f32 v[2:3], v[8:9], v[30:31]
	v_pk_mul_f32 v[0:1], v[0:1], s[0:1] op_sel_hi:[1,0]
	v_pk_fma_f32 v[2:3], v[2:3], 0.5, v[6:7] op_sel_hi:[1,0,1] neg_lo:[1,0,0] neg_hi:[1,0,0]
	s_mov_b32 s0, 0xbf248dbb
	v_pk_add_f32 v[6:7], v[2:3], v[0:1] op_sel:[0,1] op_sel_hi:[1,0] neg_lo:[0,1] neg_hi:[0,1]
	v_pk_add_f32 v[2:3], v[2:3], v[0:1] op_sel:[0,1] op_sel_hi:[1,0]
	v_pk_mul_f32 v[12:13], v[12:13], s[2:3] op_sel_hi:[1,0]
	v_fma_f32 v2, 2.0, v1, v6
	v_mov_b32_e32 v7, v3
	v_fmac_f32_e32 v3, -2.0, v0
	v_pk_fma_f32 v[0:1], v[26:27], s[14:15], v[16:17] op_sel_hi:[1,0,1]
	v_pk_fma_f32 v[12:13], v[20:21], s[0:1], v[12:13] op_sel:[0,0,1] op_sel_hi:[1,0,0] neg_lo:[0,0,1] neg_hi:[0,0,1]
	v_pk_fma_f32 v[0:1], v[8:9], s[16:17], v[0:1] op_sel_hi:[1,0,1]
	v_pk_add_f32 v[4:5], v[4:5], v[12:13] op_sel:[1,0] op_sel_hi:[0,1]
	v_pk_fma_f32 v[0:1], v[28:29], 0.5, v[0:1] op_sel_hi:[1,0,1] neg_lo:[1,0,0] neg_hi:[1,0,0]
	v_pk_fma_f32 v[4:5], v[18:19], s[10:11], v[4:5] op_sel_hi:[1,0,1]
	v_pk_fma_f32 v[0:1], v[24:25], s[18:19], v[0:1] op_sel_hi:[1,0,1] neg_lo:[1,0,0] neg_hi:[1,0,0]
	s_nop 0
	v_pk_add_f32 v[8:9], v[0:1], v[4:5] neg_lo:[0,1] neg_hi:[0,1]
	v_pk_add_f32 v[0:1], v[0:1], v[4:5]
	s_nop 0
	v_fma_f32 v0, 2.0, v4, v8
	v_mov_b32_e32 v9, v1
	v_fmac_f32_e32 v1, -2.0, v5
	ds_write2_b64 v196, v[6:7], v[8:9] offset0:102 offset1:136
	ds_write2_b64 v196, v[0:1], v[2:3] offset0:170 offset1:204
	v_add_u32_e32 v0, 0x400, v196
	ds_write2_b64 v0, v[22:23], v[10:11] offset0:110 offset1:144
	s_waitcnt lgkmcnt(0)
	s_barrier
	s_and_b64 exec, exec, vcc
	s_cbranch_execz .LBB0_23
; %bb.22:
	global_load_dwordx2 v[2:3], v43, s[8:9]
	ds_read_b64 v[6:7], v196
	v_mad_u64_u32 v[4:5], s[0:1], s6, v42, 0
	v_mov_b32_e32 v10, v5
	v_mad_u64_u32 v[10:11], s[2:3], s7, v42, v[10:11]
	v_mov_b32_e32 v0, s12
	v_mov_b32_e32 v1, s13
	;; [unrolled: 1-line block ×3, first 2 shown]
	v_mad_u64_u32 v[8:9], s[2:3], s4, v146, 0
	v_lshl_add_u64 v[0:1], v[4:5], 3, v[0:1]
	s_mov_b32 s0, 0x1ac5701b
	v_mov_b32_e32 v12, v9
	s_mov_b32 s1, 0x3f6ac570
	v_mad_u64_u32 v[12:13], s[2:3], s5, v146, v[12:13]
	v_mov_b32_e32 v9, v12
	v_lshl_add_u64 v[8:9], v[8:9], 3, v[0:1]
	v_mov_b32_e32 v10, 0x90
	s_mul_i32 s2, s5, 0x90
	s_waitcnt vmcnt(0) lgkmcnt(0)
	v_mul_f32_e32 v4, v7, v3
	v_mul_f32_e32 v3, v6, v3
	v_fmac_f32_e32 v4, v6, v2
	v_fma_f32 v5, v2, v7, -v3
	v_cvt_f64_f32_e32 v[2:3], v4
	v_cvt_f64_f32_e32 v[4:5], v5
	v_mul_f64 v[2:3], v[2:3], s[0:1]
	v_mul_f64 v[4:5], v[4:5], s[0:1]
	v_cvt_f32_f64_e32 v2, v[2:3]
	v_cvt_f32_f64_e32 v3, v[4:5]
	global_store_dwordx2 v[8:9], v[2:3], off
	global_load_dwordx2 v[6:7], v43, s[8:9] offset:144
	ds_read2_b64 v[2:5], v196 offset0:18 offset1:36
	v_mad_u64_u32 v[8:9], s[6:7], s4, v10, v[8:9]
	v_add_u32_e32 v9, s2, v9
	s_waitcnt vmcnt(0) lgkmcnt(0)
	v_mul_f32_e32 v11, v3, v7
	v_mul_f32_e32 v7, v2, v7
	v_fmac_f32_e32 v11, v2, v6
	v_fma_f32 v6, v6, v3, -v7
	v_cvt_f64_f32_e32 v[2:3], v11
	v_cvt_f64_f32_e32 v[6:7], v6
	v_mul_f64 v[2:3], v[2:3], s[0:1]
	v_mul_f64 v[6:7], v[6:7], s[0:1]
	v_cvt_f32_f64_e32 v2, v[2:3]
	v_cvt_f32_f64_e32 v3, v[6:7]
	global_store_dwordx2 v[8:9], v[2:3], off
	global_load_dwordx2 v[2:3], v43, s[8:9] offset:288
	v_mad_u64_u32 v[6:7], s[6:7], s4, v10, v[8:9]
	v_add_u32_e32 v7, s2, v7
	s_waitcnt vmcnt(0)
	v_mul_f32_e32 v8, v5, v3
	v_mul_f32_e32 v3, v4, v3
	v_fmac_f32_e32 v8, v4, v2
	v_fma_f32 v4, v2, v5, -v3
	v_cvt_f64_f32_e32 v[2:3], v8
	v_cvt_f64_f32_e32 v[4:5], v4
	v_mul_f64 v[2:3], v[2:3], s[0:1]
	v_mul_f64 v[4:5], v[4:5], s[0:1]
	v_cvt_f32_f64_e32 v2, v[2:3]
	v_cvt_f32_f64_e32 v3, v[4:5]
	global_store_dwordx2 v[6:7], v[2:3], off
	global_load_dwordx2 v[8:9], v43, s[8:9] offset:432
	ds_read2_b64 v[2:5], v196 offset0:54 offset1:72
	v_mad_u64_u32 v[6:7], s[6:7], s4, v10, v[6:7]
	v_add_u32_e32 v7, s2, v7
	s_waitcnt vmcnt(0) lgkmcnt(0)
	v_mul_f32_e32 v11, v3, v9
	v_mul_f32_e32 v9, v2, v9
	v_fmac_f32_e32 v11, v2, v8
	v_fma_f32 v8, v8, v3, -v9
	v_cvt_f64_f32_e32 v[2:3], v11
	v_cvt_f64_f32_e32 v[8:9], v8
	v_mul_f64 v[2:3], v[2:3], s[0:1]
	v_mul_f64 v[8:9], v[8:9], s[0:1]
	v_cvt_f32_f64_e32 v2, v[2:3]
	v_cvt_f32_f64_e32 v3, v[8:9]
	global_store_dwordx2 v[6:7], v[2:3], off
	global_load_dwordx2 v[2:3], v43, s[8:9] offset:576
	v_mad_u64_u32 v[6:7], s[6:7], s4, v10, v[6:7]
	v_add_u32_e32 v7, s2, v7
	s_waitcnt vmcnt(0)
	;; [unrolled: 31-line block ×7, first 2 shown]
	v_mul_f32_e32 v8, v5, v3
	v_mul_f32_e32 v3, v4, v3
	v_fmac_f32_e32 v8, v4, v2
	v_fma_f32 v4, v2, v5, -v3
	v_cvt_f64_f32_e32 v[2:3], v8
	v_cvt_f64_f32_e32 v[4:5], v4
	v_mul_f64 v[2:3], v[2:3], s[0:1]
	v_mul_f64 v[4:5], v[4:5], s[0:1]
	v_cvt_f32_f64_e32 v2, v[2:3]
	v_cvt_f32_f64_e32 v3, v[4:5]
	global_store_dwordx2 v[6:7], v[2:3], off
	global_load_dwordx2 v[8:9], v43, s[8:9] offset:2160
	v_add_u32_e32 v2, 0x800, v196
	ds_read2_b64 v[2:5], v2 offset0:14 offset1:32
	v_mad_u64_u32 v[6:7], s[6:7], s4, v10, v[6:7]
	v_add_u32_e32 v7, s2, v7
	s_waitcnt vmcnt(0) lgkmcnt(0)
	v_mul_f32_e32 v10, v3, v9
	v_mul_f32_e32 v9, v2, v9
	v_fmac_f32_e32 v10, v2, v8
	v_fma_f32 v8, v8, v3, -v9
	v_cvt_f64_f32_e32 v[2:3], v10
	v_cvt_f64_f32_e32 v[8:9], v8
	v_mul_f64 v[2:3], v[2:3], s[0:1]
	v_mul_f64 v[8:9], v[8:9], s[0:1]
	v_cvt_f32_f64_e32 v2, v[2:3]
	v_cvt_f32_f64_e32 v3, v[8:9]
	global_store_dwordx2 v[6:7], v[2:3], off
	global_load_dwordx2 v[2:3], v43, s[8:9] offset:2304
	v_or_b32_e32 v9, 0x120, v146
	v_mad_u64_u32 v[6:7], s[2:3], s4, v9, 0
	v_mov_b32_e32 v8, v7
	v_mad_u64_u32 v[8:9], s[2:3], s5, v9, v[8:9]
	v_mov_b32_e32 v7, v8
	v_lshl_add_u64 v[0:1], v[6:7], 3, v[0:1]
	s_waitcnt vmcnt(0)
	v_mul_f32_e32 v8, v5, v3
	v_mul_f32_e32 v3, v4, v3
	v_fmac_f32_e32 v8, v4, v2
	v_fma_f32 v4, v2, v5, -v3
	v_cvt_f64_f32_e32 v[2:3], v8
	v_cvt_f64_f32_e32 v[4:5], v4
	v_mul_f64 v[2:3], v[2:3], s[0:1]
	v_mul_f64 v[4:5], v[4:5], s[0:1]
	v_cvt_f32_f64_e32 v2, v[2:3]
	v_cvt_f32_f64_e32 v3, v[4:5]
	global_store_dwordx2 v[0:1], v[2:3], off
.LBB0_23:
	s_endpgm
	.section	.rodata,"a",@progbits
	.p2align	6, 0x0
	.amdhsa_kernel bluestein_single_fwd_len306_dim1_sp_op_CI_CI
		.amdhsa_group_segment_fixed_size 17136
		.amdhsa_private_segment_fixed_size 0
		.amdhsa_kernarg_size 104
		.amdhsa_user_sgpr_count 2
		.amdhsa_user_sgpr_dispatch_ptr 0
		.amdhsa_user_sgpr_queue_ptr 0
		.amdhsa_user_sgpr_kernarg_segment_ptr 1
		.amdhsa_user_sgpr_dispatch_id 0
		.amdhsa_user_sgpr_kernarg_preload_length 0
		.amdhsa_user_sgpr_kernarg_preload_offset 0
		.amdhsa_user_sgpr_private_segment_size 0
		.amdhsa_uses_dynamic_stack 0
		.amdhsa_enable_private_segment 0
		.amdhsa_system_sgpr_workgroup_id_x 1
		.amdhsa_system_sgpr_workgroup_id_y 0
		.amdhsa_system_sgpr_workgroup_id_z 0
		.amdhsa_system_sgpr_workgroup_info 0
		.amdhsa_system_vgpr_workitem_id 0
		.amdhsa_next_free_vgpr 282
		.amdhsa_next_free_sgpr 62
		.amdhsa_accum_offset 256
		.amdhsa_reserve_vcc 1
		.amdhsa_float_round_mode_32 0
		.amdhsa_float_round_mode_16_64 0
		.amdhsa_float_denorm_mode_32 3
		.amdhsa_float_denorm_mode_16_64 3
		.amdhsa_dx10_clamp 1
		.amdhsa_ieee_mode 1
		.amdhsa_fp16_overflow 0
		.amdhsa_tg_split 0
		.amdhsa_exception_fp_ieee_invalid_op 0
		.amdhsa_exception_fp_denorm_src 0
		.amdhsa_exception_fp_ieee_div_zero 0
		.amdhsa_exception_fp_ieee_overflow 0
		.amdhsa_exception_fp_ieee_underflow 0
		.amdhsa_exception_fp_ieee_inexact 0
		.amdhsa_exception_int_div_zero 0
	.end_amdhsa_kernel
	.text
.Lfunc_end0:
	.size	bluestein_single_fwd_len306_dim1_sp_op_CI_CI, .Lfunc_end0-bluestein_single_fwd_len306_dim1_sp_op_CI_CI
                                        ; -- End function
	.section	.AMDGPU.csdata,"",@progbits
; Kernel info:
; codeLenInByte = 15588
; NumSgprs: 68
; NumVgprs: 256
; NumAgprs: 26
; TotalNumVgprs: 282
; ScratchSize: 0
; MemoryBound: 0
; FloatMode: 240
; IeeeMode: 1
; LDSByteSize: 17136 bytes/workgroup (compile time only)
; SGPRBlocks: 8
; VGPRBlocks: 35
; NumSGPRsForWavesPerEU: 68
; NumVGPRsForWavesPerEU: 282
; AccumOffset: 256
; Occupancy: 1
; WaveLimiterHint : 1
; COMPUTE_PGM_RSRC2:SCRATCH_EN: 0
; COMPUTE_PGM_RSRC2:USER_SGPR: 2
; COMPUTE_PGM_RSRC2:TRAP_HANDLER: 0
; COMPUTE_PGM_RSRC2:TGID_X_EN: 1
; COMPUTE_PGM_RSRC2:TGID_Y_EN: 0
; COMPUTE_PGM_RSRC2:TGID_Z_EN: 0
; COMPUTE_PGM_RSRC2:TIDIG_COMP_CNT: 0
; COMPUTE_PGM_RSRC3_GFX90A:ACCUM_OFFSET: 63
; COMPUTE_PGM_RSRC3_GFX90A:TG_SPLIT: 0
	.text
	.p2alignl 6, 3212836864
	.fill 256, 4, 3212836864
	.type	__hip_cuid_e3884fa79c7e0c08,@object ; @__hip_cuid_e3884fa79c7e0c08
	.section	.bss,"aw",@nobits
	.globl	__hip_cuid_e3884fa79c7e0c08
__hip_cuid_e3884fa79c7e0c08:
	.byte	0                               ; 0x0
	.size	__hip_cuid_e3884fa79c7e0c08, 1

	.ident	"AMD clang version 19.0.0git (https://github.com/RadeonOpenCompute/llvm-project roc-6.4.0 25133 c7fe45cf4b819c5991fe208aaa96edf142730f1d)"
	.section	".note.GNU-stack","",@progbits
	.addrsig
	.addrsig_sym __hip_cuid_e3884fa79c7e0c08
	.amdgpu_metadata
---
amdhsa.kernels:
  - .agpr_count:     26
    .args:
      - .actual_access:  read_only
        .address_space:  global
        .offset:         0
        .size:           8
        .value_kind:     global_buffer
      - .actual_access:  read_only
        .address_space:  global
        .offset:         8
        .size:           8
        .value_kind:     global_buffer
      - .actual_access:  read_only
        .address_space:  global
        .offset:         16
        .size:           8
        .value_kind:     global_buffer
      - .actual_access:  read_only
        .address_space:  global
        .offset:         24
        .size:           8
        .value_kind:     global_buffer
      - .actual_access:  read_only
        .address_space:  global
        .offset:         32
        .size:           8
        .value_kind:     global_buffer
      - .offset:         40
        .size:           8
        .value_kind:     by_value
      - .address_space:  global
        .offset:         48
        .size:           8
        .value_kind:     global_buffer
      - .address_space:  global
        .offset:         56
        .size:           8
        .value_kind:     global_buffer
      - .address_space:  global
        .offset:         64
        .size:           8
        .value_kind:     global_buffer
      - .address_space:  global
        .offset:         72
        .size:           8
        .value_kind:     global_buffer
      - .offset:         80
        .size:           4
        .value_kind:     by_value
      - .address_space:  global
        .offset:         88
        .size:           8
        .value_kind:     global_buffer
      - .address_space:  global
        .offset:         96
        .size:           8
        .value_kind:     global_buffer
    .group_segment_fixed_size: 17136
    .kernarg_segment_align: 8
    .kernarg_segment_size: 104
    .language:       OpenCL C
    .language_version:
      - 2
      - 0
    .max_flat_workgroup_size: 238
    .name:           bluestein_single_fwd_len306_dim1_sp_op_CI_CI
    .private_segment_fixed_size: 0
    .sgpr_count:     68
    .sgpr_spill_count: 0
    .symbol:         bluestein_single_fwd_len306_dim1_sp_op_CI_CI.kd
    .uniform_work_group_size: 1
    .uses_dynamic_stack: false
    .vgpr_count:     282
    .vgpr_spill_count: 0
    .wavefront_size: 64
amdhsa.target:   amdgcn-amd-amdhsa--gfx950
amdhsa.version:
  - 1
  - 2
...

	.end_amdgpu_metadata
